;; amdgpu-corpus repo=ROCm/rocFFT kind=compiled arch=gfx1030 opt=O3
	.text
	.amdgcn_target "amdgcn-amd-amdhsa--gfx1030"
	.amdhsa_code_object_version 6
	.protected	fft_rtc_back_len3240_factors_3_3_10_6_6_wgs_108_tpt_108_halfLds_dp_ip_CI_unitstride_sbrr_dirReg ; -- Begin function fft_rtc_back_len3240_factors_3_3_10_6_6_wgs_108_tpt_108_halfLds_dp_ip_CI_unitstride_sbrr_dirReg
	.globl	fft_rtc_back_len3240_factors_3_3_10_6_6_wgs_108_tpt_108_halfLds_dp_ip_CI_unitstride_sbrr_dirReg
	.p2align	8
	.type	fft_rtc_back_len3240_factors_3_3_10_6_6_wgs_108_tpt_108_halfLds_dp_ip_CI_unitstride_sbrr_dirReg,@function
fft_rtc_back_len3240_factors_3_3_10_6_6_wgs_108_tpt_108_halfLds_dp_ip_CI_unitstride_sbrr_dirReg: ; @fft_rtc_back_len3240_factors_3_3_10_6_6_wgs_108_tpt_108_halfLds_dp_ip_CI_unitstride_sbrr_dirReg
; %bb.0:
	s_mov_b64 s[26:27], s[2:3]
	s_mov_b64 s[24:25], s[0:1]
	s_clause 0x2
	s_load_dwordx4 s[8:11], s[4:5], 0x0
	s_load_dwordx2 s[2:3], s[4:5], 0x50
	s_load_dwordx2 s[12:13], s[4:5], 0x18
	v_mul_u32_u24_e32 v1, 0x25f, v0
	v_mov_b32_e32 v3, 0
	s_add_u32 s24, s24, s7
	s_addc_u32 s25, s25, 0
	v_add_nc_u32_sdwa v5, s6, v1 dst_sel:DWORD dst_unused:UNUSED_PAD src0_sel:DWORD src1_sel:WORD_1
	v_mov_b32_e32 v1, 0
	v_mov_b32_e32 v6, v3
	;; [unrolled: 1-line block ×3, first 2 shown]
	s_waitcnt lgkmcnt(0)
	v_cmp_lt_u64_e64 s0, s[10:11], 2
	s_and_b32 vcc_lo, exec_lo, s0
	s_cbranch_vccnz .LBB0_8
; %bb.1:
	s_load_dwordx2 s[0:1], s[4:5], 0x10
	v_mov_b32_e32 v1, 0
	s_add_u32 s6, s12, 8
	v_mov_b32_e32 v2, 0
	s_addc_u32 s7, s13, 0
	s_mov_b64 s[16:17], 1
	s_waitcnt lgkmcnt(0)
	s_add_u32 s14, s0, 8
	s_addc_u32 s15, s1, 0
.LBB0_2:                                ; =>This Inner Loop Header: Depth=1
	s_load_dwordx2 s[18:19], s[14:15], 0x0
                                        ; implicit-def: $vgpr7_vgpr8
	s_mov_b32 s0, exec_lo
	s_waitcnt lgkmcnt(0)
	v_or_b32_e32 v4, s19, v6
	v_cmpx_ne_u64_e32 0, v[3:4]
	s_xor_b32 s1, exec_lo, s0
	s_cbranch_execz .LBB0_4
; %bb.3:                                ;   in Loop: Header=BB0_2 Depth=1
	v_cvt_f32_u32_e32 v4, s18
	v_cvt_f32_u32_e32 v7, s19
	s_sub_u32 s0, 0, s18
	s_subb_u32 s20, 0, s19
	v_fmac_f32_e32 v4, 0x4f800000, v7
	v_rcp_f32_e32 v4, v4
	v_mul_f32_e32 v4, 0x5f7ffffc, v4
	v_mul_f32_e32 v7, 0x2f800000, v4
	v_trunc_f32_e32 v7, v7
	v_fmac_f32_e32 v4, 0xcf800000, v7
	v_cvt_u32_f32_e32 v7, v7
	v_cvt_u32_f32_e32 v4, v4
	v_mul_lo_u32 v8, s0, v7
	v_mul_hi_u32 v9, s0, v4
	v_mul_lo_u32 v10, s20, v4
	v_add_nc_u32_e32 v8, v9, v8
	v_mul_lo_u32 v9, s0, v4
	v_add_nc_u32_e32 v8, v8, v10
	v_mul_hi_u32 v10, v4, v9
	v_mul_lo_u32 v11, v4, v8
	v_mul_hi_u32 v12, v4, v8
	v_mul_hi_u32 v13, v7, v9
	v_mul_lo_u32 v9, v7, v9
	v_mul_hi_u32 v14, v7, v8
	v_mul_lo_u32 v8, v7, v8
	v_add_co_u32 v10, vcc_lo, v10, v11
	v_add_co_ci_u32_e32 v11, vcc_lo, 0, v12, vcc_lo
	v_add_co_u32 v9, vcc_lo, v10, v9
	v_add_co_ci_u32_e32 v9, vcc_lo, v11, v13, vcc_lo
	v_add_co_ci_u32_e32 v10, vcc_lo, 0, v14, vcc_lo
	v_add_co_u32 v8, vcc_lo, v9, v8
	v_add_co_ci_u32_e32 v9, vcc_lo, 0, v10, vcc_lo
	v_add_co_u32 v4, vcc_lo, v4, v8
	v_add_co_ci_u32_e32 v7, vcc_lo, v7, v9, vcc_lo
	v_mul_hi_u32 v8, s0, v4
	v_mul_lo_u32 v10, s20, v4
	v_mul_lo_u32 v9, s0, v7
	v_add_nc_u32_e32 v8, v8, v9
	v_mul_lo_u32 v9, s0, v4
	v_add_nc_u32_e32 v8, v8, v10
	v_mul_hi_u32 v10, v4, v9
	v_mul_lo_u32 v11, v4, v8
	v_mul_hi_u32 v12, v4, v8
	v_mul_hi_u32 v13, v7, v9
	v_mul_lo_u32 v9, v7, v9
	v_mul_hi_u32 v14, v7, v8
	v_mul_lo_u32 v8, v7, v8
	v_add_co_u32 v10, vcc_lo, v10, v11
	v_add_co_ci_u32_e32 v11, vcc_lo, 0, v12, vcc_lo
	v_add_co_u32 v9, vcc_lo, v10, v9
	v_add_co_ci_u32_e32 v9, vcc_lo, v11, v13, vcc_lo
	v_add_co_ci_u32_e32 v10, vcc_lo, 0, v14, vcc_lo
	v_add_co_u32 v8, vcc_lo, v9, v8
	v_add_co_ci_u32_e32 v9, vcc_lo, 0, v10, vcc_lo
	v_add_co_u32 v4, vcc_lo, v4, v8
	v_add_co_ci_u32_e32 v11, vcc_lo, v7, v9, vcc_lo
	v_mul_hi_u32 v13, v5, v4
	v_mad_u64_u32 v[9:10], null, v6, v4, 0
	v_mad_u64_u32 v[7:8], null, v5, v11, 0
	;; [unrolled: 1-line block ×3, first 2 shown]
	v_add_co_u32 v4, vcc_lo, v13, v7
	v_add_co_ci_u32_e32 v7, vcc_lo, 0, v8, vcc_lo
	v_add_co_u32 v4, vcc_lo, v4, v9
	v_add_co_ci_u32_e32 v4, vcc_lo, v7, v10, vcc_lo
	v_add_co_ci_u32_e32 v7, vcc_lo, 0, v12, vcc_lo
	v_add_co_u32 v4, vcc_lo, v4, v11
	v_add_co_ci_u32_e32 v9, vcc_lo, 0, v7, vcc_lo
	v_mul_lo_u32 v10, s19, v4
	v_mad_u64_u32 v[7:8], null, s18, v4, 0
	v_mul_lo_u32 v11, s18, v9
	v_sub_co_u32 v7, vcc_lo, v5, v7
	v_add3_u32 v8, v8, v11, v10
	v_sub_nc_u32_e32 v10, v6, v8
	v_subrev_co_ci_u32_e64 v10, s0, s19, v10, vcc_lo
	v_add_co_u32 v11, s0, v4, 2
	v_add_co_ci_u32_e64 v12, s0, 0, v9, s0
	v_sub_co_u32 v13, s0, v7, s18
	v_sub_co_ci_u32_e32 v8, vcc_lo, v6, v8, vcc_lo
	v_subrev_co_ci_u32_e64 v10, s0, 0, v10, s0
	v_cmp_le_u32_e32 vcc_lo, s18, v13
	v_cmp_eq_u32_e64 s0, s19, v8
	v_cndmask_b32_e64 v13, 0, -1, vcc_lo
	v_cmp_le_u32_e32 vcc_lo, s19, v10
	v_cndmask_b32_e64 v14, 0, -1, vcc_lo
	v_cmp_le_u32_e32 vcc_lo, s18, v7
	;; [unrolled: 2-line block ×3, first 2 shown]
	v_cndmask_b32_e64 v15, 0, -1, vcc_lo
	v_cmp_eq_u32_e32 vcc_lo, s19, v10
	v_cndmask_b32_e64 v7, v15, v7, s0
	v_cndmask_b32_e32 v10, v14, v13, vcc_lo
	v_add_co_u32 v13, vcc_lo, v4, 1
	v_add_co_ci_u32_e32 v14, vcc_lo, 0, v9, vcc_lo
	v_cmp_ne_u32_e32 vcc_lo, 0, v10
	v_cndmask_b32_e32 v8, v14, v12, vcc_lo
	v_cndmask_b32_e32 v10, v13, v11, vcc_lo
	v_cmp_ne_u32_e32 vcc_lo, 0, v7
	v_cndmask_b32_e32 v8, v9, v8, vcc_lo
	v_cndmask_b32_e32 v7, v4, v10, vcc_lo
.LBB0_4:                                ;   in Loop: Header=BB0_2 Depth=1
	s_andn2_saveexec_b32 s0, s1
	s_cbranch_execz .LBB0_6
; %bb.5:                                ;   in Loop: Header=BB0_2 Depth=1
	v_cvt_f32_u32_e32 v4, s18
	s_sub_i32 s1, 0, s18
	v_rcp_iflag_f32_e32 v4, v4
	v_mul_f32_e32 v4, 0x4f7ffffe, v4
	v_cvt_u32_f32_e32 v4, v4
	v_mul_lo_u32 v7, s1, v4
	v_mul_hi_u32 v7, v4, v7
	v_add_nc_u32_e32 v4, v4, v7
	v_mul_hi_u32 v4, v5, v4
	v_mul_lo_u32 v7, v4, s18
	v_add_nc_u32_e32 v8, 1, v4
	v_sub_nc_u32_e32 v7, v5, v7
	v_subrev_nc_u32_e32 v9, s18, v7
	v_cmp_le_u32_e32 vcc_lo, s18, v7
	v_cndmask_b32_e32 v7, v7, v9, vcc_lo
	v_cndmask_b32_e32 v4, v4, v8, vcc_lo
	v_cmp_le_u32_e32 vcc_lo, s18, v7
	v_add_nc_u32_e32 v8, 1, v4
	v_cndmask_b32_e32 v7, v4, v8, vcc_lo
	v_mov_b32_e32 v8, v3
.LBB0_6:                                ;   in Loop: Header=BB0_2 Depth=1
	s_or_b32 exec_lo, exec_lo, s0
	s_load_dwordx2 s[0:1], s[6:7], 0x0
	v_mul_lo_u32 v4, v8, s18
	v_mul_lo_u32 v11, v7, s19
	v_mad_u64_u32 v[9:10], null, v7, s18, 0
	s_add_u32 s16, s16, 1
	s_addc_u32 s17, s17, 0
	s_add_u32 s6, s6, 8
	s_addc_u32 s7, s7, 0
	;; [unrolled: 2-line block ×3, first 2 shown]
	v_add3_u32 v4, v10, v11, v4
	v_sub_co_u32 v5, vcc_lo, v5, v9
	v_sub_co_ci_u32_e32 v4, vcc_lo, v6, v4, vcc_lo
	s_waitcnt lgkmcnt(0)
	v_mul_lo_u32 v6, s1, v5
	v_mul_lo_u32 v4, s0, v4
	v_mad_u64_u32 v[1:2], null, s0, v5, v[1:2]
	v_cmp_ge_u64_e64 s0, s[16:17], s[10:11]
	s_and_b32 vcc_lo, exec_lo, s0
	v_add3_u32 v2, v6, v2, v4
	s_cbranch_vccnz .LBB0_9
; %bb.7:                                ;   in Loop: Header=BB0_2 Depth=1
	v_mov_b32_e32 v5, v7
	v_mov_b32_e32 v6, v8
	s_branch .LBB0_2
.LBB0_8:
	v_mov_b32_e32 v8, v6
	v_mov_b32_e32 v7, v5
.LBB0_9:
	s_lshl_b64 s[0:1], s[10:11], 3
	v_mul_hi_u32 v5, 0x25ed098, v0
	s_add_u32 s0, s12, s0
	s_addc_u32 s1, s13, s1
                                        ; implicit-def: $vgpr66_vgpr67
                                        ; implicit-def: $vgpr78_vgpr79
                                        ; implicit-def: $vgpr90_vgpr91
                                        ; implicit-def: $vgpr62_vgpr63
                                        ; implicit-def: $vgpr86_vgpr87
                                        ; implicit-def: $vgpr82_vgpr83
                                        ; implicit-def: $vgpr70_vgpr71
                                        ; implicit-def: $vgpr102_vgpr103
                                        ; implicit-def: $vgpr98_vgpr99
                                        ; implicit-def: $vgpr74_vgpr75
                                        ; implicit-def: $vgpr110_vgpr111
                                        ; implicit-def: $vgpr114_vgpr115
                                        ; implicit-def: $vgpr94_vgpr95
                                        ; implicit-def: $vgpr118_vgpr119
                                        ; implicit-def: $vgpr122_vgpr123
                                        ; implicit-def: $vgpr106_vgpr107
                                        ; implicit-def: $vgpr126_vgpr127
                                        ; implicit-def: $vgpr130_vgpr131
                                        ; implicit-def: $vgpr12_vgpr13
                                        ; implicit-def: $vgpr28_vgpr29
                                        ; implicit-def: $vgpr20_vgpr21
                                        ; implicit-def: $vgpr16_vgpr17
                                        ; implicit-def: $vgpr32_vgpr33
                                        ; implicit-def: $vgpr36_vgpr37
                                        ; implicit-def: $vgpr24_vgpr25
                                        ; implicit-def: $vgpr134_vgpr135
                                        ; implicit-def: $vgpr138_vgpr139
                                        ; implicit-def: $vgpr40_vgpr41
	s_load_dwordx2 s[0:1], s[0:1], 0x0
	s_load_dwordx2 s[4:5], s[4:5], 0x20
	s_waitcnt lgkmcnt(0)
	v_mul_lo_u32 v3, s0, v8
	v_mul_lo_u32 v4, s1, v7
	v_mad_u64_u32 v[1:2], null, s0, v7, v[1:2]
	v_cmp_gt_u64_e32 vcc_lo, s[4:5], v[7:8]
                                        ; implicit-def: $vgpr8_vgpr9
	v_add3_u32 v2, v4, v2, v3
	v_mul_u32_u24_e32 v3, 0x6c, v5
                                        ; implicit-def: $vgpr4_vgpr5
	v_lshlrev_b64 v[1:2], 4, v[1:2]
	v_sub_nc_u32_e32 v174, v0, v3
	buffer_store_dword v1, off, s[24:27], 0 ; 4-byte Folded Spill
	buffer_store_dword v2, off, s[24:27], 0 offset:4 ; 4-byte Folded Spill
	s_and_saveexec_b32 s1, vcc_lo
	s_cbranch_execz .LBB0_11
; %bb.10:
	s_clause 0x1
	buffer_load_dword v2, off, s[24:27], 0
	buffer_load_dword v3, off, s[24:27], 0 offset:4
	v_mov_b32_e32 v175, 0
	v_lshlrev_b64 v[0:1], 4, v[174:175]
	s_waitcnt vmcnt(1)
	v_add_co_u32 v2, s0, s2, v2
	s_waitcnt vmcnt(0)
	v_add_co_ci_u32_e64 v3, s0, s3, v3, s0
	v_add_co_u32 v0, s0, v2, v0
	v_add_co_ci_u32_e64 v1, s0, v3, v1, s0
	v_add_co_u32 v42, s0, 0x4000, v0
	;; [unrolled: 2-line block ×25, first 2 shown]
	v_add_co_ci_u32_e64 v141, s0, 0, v1, s0
	s_clause 0x1d
	global_load_dwordx4 v[38:41], v[0:1], off
	global_load_dwordx4 v[22:25], v[0:1], off offset:1728
	global_load_dwordx4 v[30:33], v[2:3], off offset:1472
	;; [unrolled: 1-line block ×29, first 2 shown]
.LBB0_11:
	s_or_b32 exec_lo, exec_lo, s1
	s_waitcnt vmcnt(3)
	v_add_f64 v[0:1], v[132:133], v[136:137]
	v_add_f64 v[44:45], v[26:27], v[18:19]
	;; [unrolled: 1-line block ×5, first 2 shown]
	v_add_f64 v[50:51], v[138:139], -v[134:135]
	v_add_f64 v[52:53], v[34:35], v[22:23]
	v_add_f64 v[141:142], v[34:35], -v[30:31]
	v_add_f64 v[34:35], v[18:19], v[14:15]
	v_add_f64 v[143:144], v[6:7], v[10:11]
	;; [unrolled: 1-line block ×5, first 2 shown]
	v_add_f64 v[36:37], v[36:37], -v[32:33]
	v_add_f64 v[151:152], v[72:73], v[108:109]
	v_add_f64 v[155:156], v[68:69], v[100:101]
	v_add_f64 v[58:59], v[20:21], -v[28:29]
	v_add_f64 v[145:146], v[8:9], -v[4:5]
	s_mov_b32 s4, 0xe8584caa
	s_mov_b32 s5, 0xbfebb67a
	v_add_f64 v[157:158], v[108:109], v[112:113]
	s_waitcnt vmcnt(0)
	v_add_f64 v[161:162], v[64:65], v[76:77]
	v_fma_f64 v[0:1], v[0:1], -0.5, v[38:39]
	v_fma_f64 v[14:15], v[44:45], -0.5, v[14:15]
	v_add_f64 v[44:45], v[92:93], v[116:117]
	v_fma_f64 v[22:23], v[42:43], -0.5, v[22:23]
	v_fma_f64 v[10:11], v[46:47], -0.5, v[10:11]
	v_add_f64 v[38:39], v[124:125], v[128:129]
	v_add_f64 v[42:43], v[126:127], -v[106:107]
	v_add_f64 v[46:47], v[118:119], -v[94:95]
	v_add_f64 v[48:49], v[132:133], v[48:49]
	v_add_f64 v[30:31], v[30:31], v[52:53]
	;; [unrolled: 1-line block ×3, first 2 shown]
	v_fma_f64 v[128:129], v[147:148], -0.5, v[128:129]
	v_add_f64 v[169:170], v[100:101], v[96:97]
	v_add_f64 v[149:150], v[116:117], v[120:121]
	v_add_f64 v[153:154], v[110:111], -v[74:75]
	v_add_f64 v[159:160], v[60:61], v[84:85]
	v_add_f64 v[163:164], v[102:103], -v[70:71]
	v_fma_f64 v[112:113], v[151:152], -0.5, v[112:113]
	v_add_f64 v[34:35], v[26:27], v[34:35]
	v_mad_u32_u24 v140, v174, 24, 0
	s_mov_b32 s7, 0x3febb67a
	s_mov_b32 s6, s4
	v_fma_f64 v[143:144], v[50:51], s[4:5], v[0:1]
	v_fma_f64 v[165:166], v[58:59], s[4:5], v[14:15]
	v_fma_f64 v[44:45], v[44:45], -0.5, v[120:121]
	v_fma_f64 v[147:148], v[36:37], s[4:5], v[22:23]
	v_add_f64 v[120:121], v[32:33], v[54:55]
	v_fma_f64 v[32:33], v[155:156], -0.5, v[96:97]
	v_fma_f64 v[167:168], v[145:146], s[4:5], v[10:11]
	v_add_nc_u32_e32 v171, 0xa20, v140
	v_add_nc_u32_e32 v172, 0x1440, v140
	;; [unrolled: 1-line block ×3, first 2 shown]
	v_add_f64 v[177:178], v[84:85], v[80:81]
	v_add_f64 v[179:180], v[78:79], -v[66:67]
	v_fma_f64 v[96:97], v[56:57], -0.5, v[24:25]
	v_add_f64 v[38:39], v[104:105], v[38:39]
	v_fma_f64 v[54:55], v[161:162], -0.5, v[88:89]
	v_fma_f64 v[56:57], v[42:43], s[4:5], v[128:129]
	v_fma_f64 v[22:23], v[36:37], s[6:7], v[22:23]
	;; [unrolled: 1-line block ×3, first 2 shown]
	v_add_f64 v[175:176], v[86:87], -v[62:63]
	v_fma_f64 v[24:25], v[159:160], -0.5, v[80:81]
	v_fma_f64 v[0:1], v[50:51], s[6:7], v[0:1]
	v_fma_f64 v[10:11], v[145:146], s[6:7], v[10:11]
	ds_write2_b64 v140, v[48:49], v[143:144] offset1:1
	ds_write2_b64 v171, v[30:31], v[147:148] offset1:1
	;; [unrolled: 1-line block ×4, first 2 shown]
	v_fma_f64 v[34:35], v[42:43], s[6:7], v[128:129]
	v_fma_f64 v[36:37], v[46:47], s[4:5], v[44:45]
	;; [unrolled: 1-line block ×3, first 2 shown]
	v_add_f64 v[46:47], v[72:73], v[157:158]
	v_add_f64 v[52:53], v[68:69], v[169:170]
	;; [unrolled: 1-line block ×3, first 2 shown]
	v_fma_f64 v[44:45], v[153:154], s[4:5], v[112:113]
	v_fma_f64 v[48:49], v[153:154], s[6:7], v[112:113]
	;; [unrolled: 1-line block ×4, first 2 shown]
	v_add_f64 v[181:182], v[76:77], v[88:89]
	v_add_nc_u32_e32 v165, 0x2880, v140
	v_add_nc_u32_e32 v163, 0x32a8, v140
	;; [unrolled: 1-line block ×4, first 2 shown]
	v_add_f64 v[80:81], v[60:61], v[177:178]
	v_fma_f64 v[112:113], v[179:180], s[4:5], v[54:55]
	v_fma_f64 v[54:55], v[179:180], s[6:7], v[54:55]
	ds_write2_b64 v165, v[38:39], v[56:57] offset1:1
	ds_write_b64 v140, v[30:31] offset:12960
	ds_write_b64 v140, v[0:1] offset:16
	;; [unrolled: 1-line block ×6, first 2 shown]
	ds_write2_b64 v163, v[36:37], v[42:43] offset1:1
	ds_write_b64 v140, v[46:47] offset:15552
	ds_write2_b64 v164, v[44:45], v[48:49] offset1:1
	v_add_f64 v[0:1], v[28:29], v[20:21]
	ds_write_b64 v140, v[52:53] offset:18144
	ds_write2_b64 v166, v[50:51], v[32:33] offset1:1
	v_add_f64 v[10:11], v[4:5], v[8:9]
	v_add_f64 v[30:31], v[20:21], v[16:17]
	;; [unrolled: 1-line block ×4, first 2 shown]
	v_fma_f64 v[143:144], v[141:142], s[6:7], v[96:97]
	v_fma_f64 v[58:59], v[175:176], s[4:5], v[24:25]
	;; [unrolled: 1-line block ×3, first 2 shown]
	v_add_f64 v[88:89], v[64:65], v[181:182]
	v_lshl_add_u32 v180, v174, 3, 0
	v_add_f64 v[153:154], v[106:107], v[126:127]
	v_add_f64 v[155:156], v[94:95], v[118:119]
	;; [unrolled: 1-line block ×4, first 2 shown]
	v_add_nc_u32_e32 v168, 0x5b28, v140
	v_add_nc_u32_e32 v178, 0x4000, v180
	;; [unrolled: 1-line block ×14, first 2 shown]
	ds_write_b64 v140, v[80:81] offset:20736
	ds_write2_b64 v167, v[58:59], v[24:25] offset1:1
	ds_write_b64 v140, v[88:89] offset:23328
	ds_write2_b64 v168, v[112:113], v[54:55] offset1:1
	s_waitcnt lgkmcnt(0)
	s_waitcnt_vscnt null, 0x0
	s_barrier
	buffer_gl0_inv
	v_add_nc_u32_e32 v188, 0x2c00, v180
	v_add_nc_u32_e32 v189, 0x5000, v180
	v_fma_f64 v[80:81], v[0:1], -0.5, v[16:17]
	v_add_f64 v[88:89], v[18:19], -v[26:27]
	v_fma_f64 v[112:113], v[10:11], -0.5, v[12:13]
	v_add_f64 v[128:129], v[6:7], -v[2:3]
	ds_read2_b64 v[12:15], v180 offset1:108
	ds_read2_b64 v[56:59], v179 offset0:56 offset1:164
	ds_read2_b64 v[52:55], v178 offset0:112 offset1:220
	;; [unrolled: 1-line block ×10, first 2 shown]
	v_add_f64 v[145:146], v[28:29], v[30:31]
	v_add_f64 v[149:150], v[4:5], v[32:33]
	v_add_f64 v[138:139], v[138:139], v[40:41]
	ds_read2_b64 v[32:35], v183 offset0:120 offset1:228
	ds_read2_b64 v[4:7], v190 offset0:96 offset1:204
	;; [unrolled: 1-line block ×3, first 2 shown]
	v_add_f64 v[132:133], v[136:137], -v[132:133]
	v_fma_f64 v[136:137], v[42:43], -0.5, v[40:41]
	ds_read2_b64 v[40:43], v192 offset0:80 offset1:188
	s_waitcnt lgkmcnt(0)
	s_barrier
	buffer_gl0_inv
	v_add_f64 v[161:162], v[62:63], v[86:87]
	ds_write2_b64 v171, v[120:121], v[143:144] offset1:1
	v_add_f64 v[120:121], v[66:67], v[78:79]
	v_add_f64 v[126:127], v[126:127], v[130:131]
	v_add_f64 v[118:119], v[118:119], v[122:123]
	v_fma_f64 v[130:131], v[153:154], -0.5, v[130:131]
	v_add_f64 v[86:87], v[86:87], v[82:83]
	v_add_f64 v[104:105], v[124:125], -v[104:105]
	v_fma_f64 v[122:123], v[155:156], -0.5, v[122:123]
	v_add_f64 v[78:79], v[78:79], v[90:91]
	v_add_f64 v[92:93], v[116:117], -v[92:93]
	v_add_f64 v[110:111], v[110:111], v[114:115]
	v_add_f64 v[102:103], v[102:103], v[98:99]
	v_fma_f64 v[114:115], v[157:158], -0.5, v[114:115]
	v_add_f64 v[72:73], v[108:109], -v[72:73]
	v_add_f64 v[68:69], v[100:101], -v[68:69]
	v_fma_f64 v[98:99], v[159:160], -0.5, v[98:99]
	v_add_f64 v[60:61], v[84:85], -v[60:61]
	v_add_f64 v[64:65], v[76:77], -v[64:65]
	v_fma_f64 v[147:148], v[88:89], s[6:7], v[80:81]
	v_add_f64 v[134:135], v[134:135], v[138:139]
	v_fma_f64 v[124:125], v[132:133], s[6:7], v[136:137]
	v_fma_f64 v[82:83], v[161:162], -0.5, v[82:83]
	v_fma_f64 v[151:152], v[128:129], s[6:7], v[112:113]
	v_fma_f64 v[76:77], v[120:121], -0.5, v[90:91]
	v_add_f64 v[84:85], v[106:107], v[126:127]
	v_add_f64 v[90:91], v[94:95], v[118:119]
	v_fma_f64 v[94:95], v[132:133], s[4:5], v[136:137]
	v_fma_f64 v[96:97], v[141:142], s[4:5], v[96:97]
	;; [unrolled: 1-line block ×4, first 2 shown]
	v_add_f64 v[62:63], v[62:63], v[86:87]
	v_fma_f64 v[86:87], v[104:105], s[6:7], v[130:131]
	v_add_f64 v[66:67], v[66:67], v[78:79]
	v_fma_f64 v[78:79], v[92:93], s[6:7], v[122:123]
	v_fma_f64 v[92:93], v[92:93], s[4:5], v[122:123]
	v_add_f64 v[74:75], v[74:75], v[110:111]
	v_add_f64 v[70:71], v[70:71], v[102:103]
	v_fma_f64 v[100:101], v[104:105], s[4:5], v[130:131]
	v_fma_f64 v[102:103], v[72:73], s[6:7], v[114:115]
	;; [unrolled: 1-line block ×5, first 2 shown]
	v_and_b32_e32 v132, 0xff, v174
	v_add_nc_u16 v195, v174, 0x6c
	v_fma_f64 v[98:99], v[60:61], s[6:7], v[82:83]
	v_fma_f64 v[60:61], v[60:61], s[4:5], v[82:83]
	;; [unrolled: 1-line block ×4, first 2 shown]
	v_mul_lo_u16 v76, 0xab, v132
	v_and_b32_e32 v198, 0xff, v195
	ds_write2_b64 v172, v[145:146], v[147:148] offset1:1
	ds_write2_b64 v140, v[134:135], v[124:125] offset1:1
	;; [unrolled: 1-line block ×3, first 2 shown]
	v_lshrrev_b16 v146, 9, v76
	v_mul_lo_u16 v76, 0xab, v198
	ds_write_b64 v140, v[94:95] offset:16
	ds_write_b64 v140, v[96:97] offset:2608
	;; [unrolled: 1-line block ×4, first 2 shown]
	ds_write2_b64 v165, v[84:85], v[86:87] offset1:1
	ds_write_b64 v140, v[100:101] offset:10384
	ds_write_b64 v140, v[90:91] offset:12960
	v_lshrrev_b16 v134, 9, v76
	ds_write2_b64 v163, v[78:79], v[92:93] offset1:1
	ds_write_b64 v140, v[74:75] offset:15552
	ds_write2_b64 v164, v[102:103], v[72:73] offset1:1
	v_mul_lo_u16 v72, v146, 3
	ds_write_b64 v140, v[70:71] offset:18144
	ds_write2_b64 v166, v[104:105], v[68:69] offset1:1
	ds_write_b64 v140, v[62:63] offset:20736
	v_mov_b32_e32 v194, 5
	v_mul_lo_u16 v62, v134, 3
	v_add_nc_u32_e32 v196, 0xd8, v174
	v_sub_nc_u16 v135, v174, v72
	v_mov_b32_e32 v100, 0xaaab
	v_add_nc_u32_e32 v197, 0x144, v174
	v_sub_nc_u16 v136, v195, v62
	v_add_nc_u32_e32 v177, 0x1b0, v174
	v_lshlrev_b32_sdwa v68, v194, v135 dst_sel:DWORD dst_unused:UNUSED_PAD src0_sel:DWORD src1_sel:BYTE_0
	v_mul_u32_u24_sdwa v69, v196, v100 dst_sel:DWORD dst_unused:UNUSED_PAD src0_sel:WORD_0 src1_sel:DWORD
	v_mul_u32_u24_sdwa v70, v197, v100 dst_sel:DWORD dst_unused:UNUSED_PAD src0_sel:WORD_0 src1_sel:DWORD
	v_lshlrev_b32_sdwa v72, v194, v136 dst_sel:DWORD dst_unused:UNUSED_PAD src0_sel:DWORD src1_sel:BYTE_0
	ds_write2_b64 v167, v[98:99], v[60:61] offset1:1
	ds_write_b64 v140, v[66:67] offset:23328
	ds_write2_b64 v168, v[82:83], v[64:65] offset1:1
	s_waitcnt lgkmcnt(0)
	s_barrier
	buffer_gl0_inv
	s_clause 0x1
	global_load_dwordx4 v[64:67], v68, s[8:9]
	global_load_dwordx4 v[60:63], v72, s[8:9]
	v_lshrrev_b32_e32 v151, 17, v69
	v_lshrrev_b32_e32 v147, 17, v70
	s_clause 0x1
	global_load_dwordx4 v[68:71], v68, s[8:9] offset:16
	global_load_dwordx4 v[72:75], v72, s[8:9] offset:16
	v_add_nc_u32_e32 v84, 0x21c, v174
	v_mul_u32_u24_sdwa v78, v177, v100 dst_sel:DWORD dst_unused:UNUSED_PAD src0_sel:WORD_0 src1_sel:DWORD
	v_mul_lo_u16 v76, v151, 3
	v_mul_lo_u16 v77, v147, 3
	v_add_nc_u32_e32 v101, 0x288, v174
	v_mul_u32_u24_sdwa v79, v84, v100 dst_sel:DWORD dst_unused:UNUSED_PAD src0_sel:WORD_0 src1_sel:DWORD
	v_lshrrev_b32_e32 v150, 17, v78
	v_sub_nc_u16 v148, v196, v76
	v_sub_nc_u16 v149, v197, v77
	v_add_nc_u32_e32 v104, 0x2f4, v174
	v_lshrrev_b32_e32 v133, 17, v79
	v_mul_lo_u16 v86, v150, 3
	v_lshlrev_b32_sdwa v76, v194, v148 dst_sel:DWORD dst_unused:UNUSED_PAD src0_sel:DWORD src1_sel:WORD_0
	v_lshlrev_b32_sdwa v85, v194, v149 dst_sel:DWORD dst_unused:UNUSED_PAD src0_sel:DWORD src1_sel:WORD_0
	v_mul_u32_u24_sdwa v88, v101, v100 dst_sel:DWORD dst_unused:UNUSED_PAD src0_sel:WORD_0 src1_sel:DWORD
	v_mul_lo_u16 v87, v133, 3
	v_add_nc_u32_e32 v108, 0x360, v174
	v_sub_nc_u16 v152, v177, v86
	v_add_nc_u32_e32 v120, 0x3cc, v174
	s_clause 0x1
	global_load_dwordx4 v[80:83], v76, s[8:9]
	global_load_dwordx4 v[76:79], v76, s[8:9] offset:16
	v_mul_u32_u24_sdwa v92, v104, v100 dst_sel:DWORD dst_unused:UNUSED_PAD src0_sel:WORD_0 src1_sel:DWORD
	v_sub_nc_u16 v138, v84, v87
	v_lshrrev_b32_e32 v137, 17, v88
	s_clause 0x1
	global_load_dwordx4 v[88:91], v85, s[8:9]
	global_load_dwordx4 v[84:87], v85, s[8:9] offset:16
	v_mul_u32_u24_sdwa v106, v108, v100 dst_sel:DWORD dst_unused:UNUSED_PAD src0_sel:WORD_0 src1_sel:DWORD
	v_lshlrev_b32_sdwa v93, v194, v152 dst_sel:DWORD dst_unused:UNUSED_PAD src0_sel:DWORD src1_sel:WORD_0
	v_mul_u32_u24_sdwa v109, v120, v100 dst_sel:DWORD dst_unused:UNUSED_PAD src0_sel:WORD_0 src1_sel:DWORD
	v_lshrrev_b32_e32 v139, 17, v92
	v_mul_lo_u16 v102, v137, 3
	v_lshrrev_b32_e32 v141, 17, v106
	s_clause 0x1
	global_load_dwordx4 v[96:99], v93, s[8:9]
	global_load_dwordx4 v[92:95], v93, s[8:9] offset:16
	v_lshrrev_b32_e32 v140, 17, v109
	v_mul_lo_u16 v107, v139, 3
	v_sub_nc_u16 v145, v101, v102
	v_mul_lo_u16 v110, v141, 3
	v_lshlrev_b32_sdwa v105, v194, v138 dst_sel:DWORD dst_unused:UNUSED_PAD src0_sel:DWORD src1_sel:WORD_0
	v_mul_lo_u16 v122, v140, 3
	v_sub_nc_u16 v142, v104, v107
	v_lshlrev_b32_sdwa v109, v194, v145 dst_sel:DWORD dst_unused:UNUSED_PAD src0_sel:DWORD src1_sel:WORD_0
	v_sub_nc_u16 v144, v108, v110
	global_load_dwordx4 v[100:103], v105, s[8:9]
	v_sub_nc_u16 v143, v120, v122
	v_lshlrev_b32_sdwa v121, v194, v142 dst_sel:DWORD dst_unused:UNUSED_PAD src0_sel:DWORD src1_sel:WORD_0
	s_clause 0x1
	global_load_dwordx4 v[112:115], v109, s[8:9]
	global_load_dwordx4 v[104:107], v105, s[8:9] offset:16
	v_lshlrev_b32_sdwa v153, v194, v144 dst_sel:DWORD dst_unused:UNUSED_PAD src0_sel:DWORD src1_sel:WORD_0
	v_lshlrev_b32_sdwa v157, v194, v143 dst_sel:DWORD dst_unused:UNUSED_PAD src0_sel:DWORD src1_sel:WORD_0
	s_clause 0x6
	global_load_dwordx4 v[116:119], v121, s[8:9]
	global_load_dwordx4 v[108:111], v109, s[8:9] offset:16
	global_load_dwordx4 v[120:123], v121, s[8:9] offset:16
	global_load_dwordx4 v[124:127], v153, s[8:9]
	global_load_dwordx4 v[128:131], v157, s[8:9]
	global_load_dwordx4 v[153:156], v153, s[8:9] offset:16
	global_load_dwordx4 v[157:160], v157, s[8:9] offset:16
	v_mov_b32_e32 v165, 0x48
	v_mov_b32_e32 v193, 3
	ds_read2_b64 v[161:164], v179 offset0:56 offset1:164
	v_mul_u32_u24_e32 v167, 0x48, v147
	v_mul_u32_u24_e32 v168, 0x48, v150
	v_mul_u32_u24_sdwa v166, v146, v165 dst_sel:DWORD dst_unused:UNUSED_PAD src0_sel:WORD_0 src1_sel:DWORD
	v_mul_u32_u24_sdwa v165, v134, v165 dst_sel:DWORD dst_unused:UNUSED_PAD src0_sel:WORD_0 src1_sel:DWORD
	v_lshlrev_b32_sdwa v134, v193, v135 dst_sel:DWORD dst_unused:UNUSED_PAD src0_sel:DWORD src1_sel:BYTE_0
	v_lshlrev_b32_sdwa v135, v193, v148 dst_sel:DWORD dst_unused:UNUSED_PAD src0_sel:DWORD src1_sel:WORD_0
	v_lshlrev_b32_sdwa v150, v193, v149 dst_sel:DWORD dst_unused:UNUSED_PAD src0_sel:DWORD src1_sel:WORD_0
	ds_read2_b64 v[146:149], v178 offset0:112 offset1:220
	v_mul_u32_u24_e32 v151, 0x48, v151
	v_lshlrev_b32_sdwa v152, v193, v152 dst_sel:DWORD dst_unused:UNUSED_PAD src0_sel:DWORD src1_sel:WORD_0
	v_add3_u32 v171, 0, v166, v134
	v_lshlrev_b32_sdwa v166, v193, v136 dst_sel:DWORD dst_unused:UNUSED_PAD src0_sel:DWORD src1_sel:BYTE_0
	v_add3_u32 v134, 0, v167, v150
	v_add3_u32 v172, 0, v151, v135
	s_mov_b32 s16, 0x134454ff
	s_mov_b32 s17, 0xbfee6f0e
	v_add3_u32 v173, 0, v165, v166
	s_mov_b32 s1, 0x3fee6f0e
	s_mov_b32 s0, s16
	;; [unrolled: 1-line block ×14, first 2 shown]
	s_waitcnt vmcnt(19) lgkmcnt(1)
	v_mul_f64 v[135:136], v[161:162], v[66:67]
	v_mul_f64 v[150:151], v[56:57], v[66:67]
	v_add3_u32 v66, 0, v168, v152
	ds_read2_b64 v[165:168], v185 offset0:16 offset1:124
	ds_read2_b64 v[199:202], v186 offset0:72 offset1:180
	s_waitcnt vmcnt(17) lgkmcnt(2)
	v_mul_f64 v[243:244], v[146:147], v[70:71]
	v_mul_f64 v[70:71], v[52:53], v[70:71]
	;; [unrolled: 1-line block ×4, first 2 shown]
	s_waitcnt vmcnt(16)
	v_mul_f64 v[245:246], v[148:149], v[74:75]
	v_mul_f64 v[74:75], v[54:55], v[74:75]
	ds_read2_b64 v[203:206], v188 offset0:104 offset1:212
	ds_read2_b64 v[207:210], v189 offset0:32 offset1:140
	;; [unrolled: 1-line block ×6, first 2 shown]
	ds_read2_b64 v[227:230], v180 offset1:108
	ds_read2_b64 v[231:234], v184 offset0:88 offset1:196
	ds_read2_b64 v[235:238], v187 offset0:48 offset1:156
	;; [unrolled: 1-line block ×3, first 2 shown]
	v_fma_f64 v[56:57], v[56:57], v[64:65], v[135:136]
	v_fma_f64 v[135:136], v[161:162], v[64:65], -v[150:151]
	s_waitcnt vmcnt(15) lgkmcnt(11)
	v_mul_f64 v[150:151], v[165:166], v[82:83]
	v_mul_f64 v[82:83], v[48:49], v[82:83]
	v_fma_f64 v[52:53], v[52:53], v[68:69], v[243:244]
	v_fma_f64 v[67:68], v[146:147], v[68:69], -v[70:71]
	v_fma_f64 v[58:59], v[58:59], v[60:61], v[169:170]
	s_waitcnt vmcnt(12) lgkmcnt(10)
	v_mul_f64 v[69:70], v[201:202], v[86:87]
	v_fma_f64 v[60:61], v[163:164], v[60:61], -v[175:176]
	v_mul_f64 v[163:164], v[199:200], v[78:79]
	v_mul_f64 v[78:79], v[44:45], v[78:79]
	;; [unrolled: 1-line block ×4, first 2 shown]
	v_fma_f64 v[54:55], v[54:55], v[72:73], v[245:246]
	s_waitcnt vmcnt(11) lgkmcnt(9)
	v_mul_f64 v[146:147], v[203:204], v[98:99]
	v_fma_f64 v[71:72], v[148:149], v[72:73], -v[74:75]
	s_waitcnt vmcnt(10) lgkmcnt(8)
	v_mul_f64 v[148:149], v[207:208], v[94:95]
	v_mul_f64 v[90:91], v[50:51], v[90:91]
	v_mul_f64 v[98:99], v[36:37], v[98:99]
	v_mul_f64 v[94:95], v[24:25], v[94:95]
	ds_read2_b64 v[62:65], v190 offset0:96 offset1:204
	s_waitcnt vmcnt(0) lgkmcnt(0)
	s_barrier
	buffer_gl0_inv
	v_fma_f64 v[48:49], v[48:49], v[80:81], v[150:151]
	v_fma_f64 v[80:81], v[165:166], v[80:81], -v[82:83]
	v_mul_f64 v[73:74], v[205:206], v[102:103]
	v_mul_f64 v[102:103], v[38:39], v[102:103]
	;; [unrolled: 1-line block ×3, first 2 shown]
	v_fma_f64 v[46:47], v[46:47], v[84:85], v[69:70]
	v_mul_f64 v[106:107], v[26:27], v[106:107]
	v_mul_f64 v[69:70], v[219:220], v[126:127]
	v_fma_f64 v[44:45], v[44:45], v[76:77], v[163:164]
	v_fma_f64 v[75:76], v[199:200], v[76:77], -v[78:79]
	v_mul_f64 v[77:78], v[217:218], v[122:123]
	v_fma_f64 v[150:151], v[50:51], v[88:89], v[161:162]
	v_fma_f64 v[84:85], v[201:202], v[84:85], -v[86:87]
	v_mul_f64 v[86:87], v[221:222], v[130:131]
	v_mul_f64 v[161:162], v[215:216], v[110:111]
	;; [unrolled: 1-line block ×3, first 2 shown]
	v_fma_f64 v[146:147], v[36:37], v[96:97], v[146:147]
	v_fma_f64 v[24:25], v[24:25], v[92:93], v[148:149]
	v_mul_f64 v[50:51], v[211:212], v[114:115]
	v_fma_f64 v[88:89], v[167:168], v[88:89], -v[90:91]
	v_mul_f64 v[90:91], v[213:214], v[118:119]
	v_mul_f64 v[163:164], v[223:224], v[155:156]
	v_fma_f64 v[36:37], v[203:204], v[96:97], -v[98:99]
	v_mul_f64 v[96:97], v[225:226], v[159:160]
	v_mul_f64 v[130:131], v[30:31], v[130:131]
	v_fma_f64 v[73:74], v[38:39], v[100:101], v[73:74]
	v_fma_f64 v[82:83], v[26:27], v[104:105], v[82:83]
	v_add_f64 v[26:27], v[56:57], v[52:53]
	v_mul_f64 v[122:123], v[34:35], v[122:123]
	v_mul_f64 v[126:127], v[28:29], v[126:127]
	v_fma_f64 v[69:70], v[28:29], v[124:125], v[69:70]
	v_add_f64 v[28:29], v[58:59], v[54:55]
	v_fma_f64 v[77:78], v[34:35], v[120:121], v[77:78]
	v_add_f64 v[34:35], v[48:49], v[44:45]
	v_fma_f64 v[38:39], v[205:206], v[100:101], -v[102:103]
	v_fma_f64 v[86:87], v[30:31], v[128:129], v[86:87]
	v_add_f64 v[30:31], v[150:151], v[46:47]
	v_fma_f64 v[92:93], v[207:208], v[92:93], -v[94:95]
	v_fma_f64 v[94:95], v[209:210], v[104:105], -v[106:107]
	v_fma_f64 v[102:103], v[32:33], v[108:109], v[161:162]
	v_fma_f64 v[104:105], v[215:216], v[108:109], -v[110:111]
	v_add_f64 v[108:109], v[146:147], v[24:25]
	v_mul_f64 v[114:115], v[20:21], v[114:115]
	v_fma_f64 v[100:101], v[20:21], v[112:113], v[50:51]
	v_mul_f64 v[118:119], v[22:23], v[118:119]
	v_mul_f64 v[155:156], v[40:41], v[155:156]
	;; [unrolled: 1-line block ×3, first 2 shown]
	v_fma_f64 v[90:91], v[22:23], v[116:117], v[90:91]
	v_fma_f64 v[110:111], v[40:41], v[153:154], v[163:164]
	;; [unrolled: 1-line block ×3, first 2 shown]
	v_add_f64 v[40:41], v[12:13], v[56:57]
	v_add_f64 v[42:43], v[135:136], -v[67:68]
	v_fma_f64 v[12:13], v[26:27], -0.5, v[12:13]
	v_fma_f64 v[50:51], v[221:222], v[128:129], -v[130:131]
	v_add_f64 v[130:131], v[73:74], v[82:83]
	v_fma_f64 v[106:107], v[217:218], v[120:121], -v[122:123]
	v_add_f64 v[120:121], v[14:15], v[58:59]
	v_add_f64 v[26:27], v[60:61], -v[71:72]
	v_fma_f64 v[14:15], v[28:29], -0.5, v[14:15]
	v_add_f64 v[122:123], v[16:17], v[48:49]
	v_add_f64 v[28:29], v[80:81], -v[75:76]
	v_fma_f64 v[16:17], v[34:35], -0.5, v[16:17]
	v_fma_f64 v[32:33], v[219:220], v[124:125], -v[126:127]
	v_add_f64 v[124:125], v[18:19], v[150:151]
	v_add_f64 v[34:35], v[88:89], -v[84:85]
	v_fma_f64 v[18:19], v[30:31], -0.5, v[18:19]
	v_add_f64 v[126:127], v[8:9], v[146:147]
	v_add_f64 v[30:31], v[36:37], -v[92:93]
	v_fma_f64 v[8:9], v[108:109], -0.5, v[8:9]
	v_fma_f64 v[20:21], v[211:212], v[112:113], -v[114:115]
	v_add_f64 v[148:149], v[100:101], v[102:103]
	v_fma_f64 v[22:23], v[213:214], v[116:117], -v[118:119]
	v_fma_f64 v[112:113], v[223:224], v[153:154], -v[155:156]
	;; [unrolled: 1-line block ×3, first 2 shown]
	v_add_f64 v[40:41], v[40:41], v[52:53]
	v_fma_f64 v[152:153], v[42:43], s[4:5], v[12:13]
	v_add_f64 v[158:159], v[90:91], v[77:78]
	v_add_f64 v[114:115], v[135:136], v[67:68]
	;; [unrolled: 1-line block ×4, first 2 shown]
	v_fma_f64 v[12:13], v[42:43], s[6:7], v[12:13]
	v_add_f64 v[154:155], v[38:39], -v[94:95]
	v_fma_f64 v[10:11], v[130:131], -0.5, v[10:11]
	v_add_f64 v[120:121], v[120:121], v[54:55]
	v_fma_f64 v[42:43], v[26:27], s[4:5], v[14:15]
	v_fma_f64 v[14:15], v[26:27], s[6:7], v[14:15]
	v_add_f64 v[122:123], v[122:123], v[44:45]
	v_fma_f64 v[26:27], v[28:29], s[4:5], v[16:17]
	v_fma_f64 v[16:17], v[28:29], s[6:7], v[16:17]
	;; [unrolled: 3-line block ×3, first 2 shown]
	v_add_f64 v[126:127], v[126:127], v[24:25]
	v_fma_f64 v[34:35], v[30:31], s[4:5], v[8:9]
	v_add_f64 v[156:157], v[0:1], v[100:101]
	v_add_f64 v[160:161], v[20:21], -v[104:105]
	v_add_f64 v[130:131], v[36:37], v[92:93]
	v_fma_f64 v[0:1], v[148:149], -0.5, v[0:1]
	ds_write2_b64 v171, v[40:41], v[152:153] offset1:3
	ds_write_b64 v171, v[12:13] offset:48
	ds_write2_b64 v173, v[120:121], v[42:43] offset1:3
	ds_write_b64 v173, v[14:15] offset:48
	;; [unrolled: 2-line block ×4, first 2 shown]
	ds_write2_b64 v66, v[126:127], v[34:35] offset1:3
	v_fma_f64 v[8:9], v[30:31], s[6:7], v[8:9]
	v_fma_f64 v[26:27], v[158:159], -0.5, v[2:3]
	v_add_f64 v[28:29], v[22:23], -v[106:107]
	v_add_f64 v[14:15], v[135:136], v[82:83]
	v_fma_f64 v[16:17], v[154:155], s[4:5], v[10:11]
	v_fma_f64 v[10:11], v[154:155], s[6:7], v[10:11]
	v_add_f64 v[162:163], v[69:70], v[110:111]
	v_add_f64 v[164:165], v[38:39], v[94:95]
	;; [unrolled: 1-line block ×4, first 2 shown]
	v_fma_f64 v[122:123], v[130:131], -0.5, v[235:236]
	v_fma_f64 v[30:31], v[160:161], s[4:5], v[0:1]
	v_add_f64 v[126:127], v[237:238], v[38:39]
	v_add_f64 v[38:39], v[20:21], v[104:105]
	v_fma_f64 v[0:1], v[160:161], s[6:7], v[0:1]
	v_add_f64 v[130:131], v[239:240], v[20:21]
	v_add_f64 v[20:21], v[32:33], v[112:113]
	;; [unrolled: 1-line block ×4, first 2 shown]
	v_mul_u32_u24_e32 v40, 0x48, v133
	v_lshlrev_b32_sdwa v41, v193, v138 dst_sel:DWORD dst_unused:UNUSED_PAD src0_sel:DWORD src1_sel:WORD_0
	v_add_f64 v[118:119], v[80:81], v[75:76]
	v_mul_u32_u24_e32 v42, 0x48, v137
	v_lshlrev_b32_sdwa v43, v193, v145 dst_sel:DWORD dst_unused:UNUSED_PAD src0_sel:DWORD src1_sel:WORD_0
	v_add_f64 v[108:109], v[88:89], v[84:85]
	v_add3_u32 v133, 0, v40, v41
	ds_write_b64 v66, v[8:9] offset:48
	ds_write2_b64 v133, v[14:15], v[16:17] offset1:3
	ds_write_b64 v133, v[10:11] offset:48
	v_fma_f64 v[10:11], v[28:29], s[4:5], v[26:27]
	v_fma_f64 v[14:15], v[28:29], s[6:7], v[26:27]
	v_add_f64 v[26:27], v[50:51], v[98:99]
	v_add3_u32 v152, 0, v42, v43
	v_fma_f64 v[114:115], v[114:115], -0.5, v[227:228]
	v_add_f64 v[120:121], v[235:236], v[36:37]
	v_add_f64 v[2:3], v[2:3], v[90:91]
	v_fma_f64 v[4:5], v[162:163], -0.5, v[4:5]
	v_add_f64 v[36:37], v[32:33], -v[112:113]
	v_fma_f64 v[12:13], v[12:13], -0.5, v[6:7]
	v_add_f64 v[6:7], v[6:7], v[86:87]
	v_add_f64 v[40:41], v[50:51], -v[98:99]
	ds_write2_b64 v152, v[18:19], v[30:31] offset1:3
	v_mul_u32_u24_e32 v30, 0x48, v139
	ds_write_b64 v152, v[0:1] offset:48
	v_mul_u32_u24_e32 v0, 0x48, v140
	v_add_f64 v[139:140], v[62:63], v[32:33]
	v_fma_f64 v[62:63], v[20:21], -0.5, v[62:63]
	v_add_f64 v[20:21], v[56:57], -v[52:53]
	v_add_f64 v[60:61], v[229:230], v[60:61]
	v_fma_f64 v[116:117], v[116:117], -0.5, v[229:230]
	v_add_f64 v[8:9], v[22:23], v[106:107]
	v_add_f64 v[16:17], v[34:35], v[110:111]
	v_lshlrev_b32_sdwa v31, v193, v142 dst_sel:DWORD dst_unused:UNUSED_PAD src0_sel:DWORD src1_sel:WORD_0
	v_mul_u32_u24_e32 v34, 0x48, v141
	v_add_f64 v[141:142], v[241:242], v[22:23]
	v_add_f64 v[22:23], v[58:59], -v[54:55]
	v_add_f64 v[79:80], v[231:232], v[80:81]
	v_fma_f64 v[118:119], v[118:119], -0.5, v[231:232]
	v_lshlrev_b32_sdwa v35, v193, v144 dst_sel:DWORD dst_unused:UNUSED_PAD src0_sel:DWORD src1_sel:WORD_0
	v_lshlrev_b32_sdwa v1, v193, v143 dst_sel:DWORD dst_unused:UNUSED_PAD src0_sel:DWORD src1_sel:WORD_0
	v_fma_f64 v[143:144], v[26:27], -0.5, v[64:65]
	v_add_f64 v[26:27], v[48:49], -v[44:45]
	v_add_f64 v[88:89], v[233:234], v[88:89]
	v_fma_f64 v[108:109], v[108:109], -0.5, v[233:234]
	v_add_f64 v[67:68], v[128:129], v[67:68]
	v_add_f64 v[128:129], v[150:151], -v[46:47]
	v_add_f64 v[2:3], v[2:3], v[77:78]
	v_fma_f64 v[18:19], v[36:37], s[4:5], v[4:5]
	v_fma_f64 v[4:5], v[36:37], s[6:7], v[4:5]
	v_add_f64 v[6:7], v[6:7], v[96:97]
	v_fma_f64 v[28:29], v[40:41], s[4:5], v[12:13]
	v_fma_f64 v[12:13], v[40:41], s[6:7], v[12:13]
	;; [unrolled: 1-line block ×4, first 2 shown]
	v_add_f64 v[60:61], v[60:61], v[71:72]
	v_add_f64 v[145:146], v[146:147], -v[24:25]
	v_add3_u32 v153, 0, v30, v31
	v_fma_f64 v[71:72], v[22:23], s[6:7], v[116:117]
	v_fma_f64 v[116:117], v[22:23], s[4:5], v[116:117]
	v_add_f64 v[75:76], v[79:80], v[75:76]
	v_add3_u32 v154, 0, v34, v35
	v_add3_u32 v155, 0, v0, v1
	v_add_f64 v[73:74], v[73:74], -v[82:83]
	v_fma_f64 v[79:80], v[26:27], s[6:7], v[118:119]
	v_fma_f64 v[118:119], v[26:27], s[4:5], v[118:119]
	v_add_f64 v[83:84], v[88:89], v[84:85]
	v_fma_f64 v[124:125], v[164:165], -0.5, v[237:238]
	v_fma_f64 v[88:89], v[128:129], s[6:7], v[108:109]
	v_fma_f64 v[135:136], v[38:39], -0.5, v[239:240]
	v_fma_f64 v[137:138], v[8:9], -0.5, v[241:242]
	ds_write2_b64 v153, v[2:3], v[10:11] offset1:3
	ds_write_b64 v153, v[14:15] offset:48
	ds_write2_b64 v154, v[16:17], v[18:19] offset1:3
	v_add_f64 v[64:65], v[64:65], v[50:51]
	ds_write_b64 v154, v[4:5] offset:48
	ds_write2_b64 v155, v[6:7], v[28:29] offset1:3
	ds_write_b64 v155, v[12:13] offset:48
	s_waitcnt lgkmcnt(0)
	s_barrier
	buffer_gl0_inv
	ds_read2_b64 v[4:7], v180 offset1:108
	ds_read2_b64 v[0:3], v184 offset0:88 offset1:196
	ds_read2_b64 v[56:59], v181 offset0:136 offset1:244
	;; [unrolled: 1-line block ×14, first 2 shown]
	s_waitcnt lgkmcnt(0)
	s_barrier
	v_add_f64 v[77:78], v[90:91], -v[77:78]
	buffer_gl0_inv
	ds_write2_b64 v171, v[67:68], v[148:149] offset1:3
	v_add_f64 v[67:68], v[69:70], -v[110:111]
	ds_write_b64 v171, v[114:115] offset:48
	ds_write2_b64 v173, v[60:61], v[71:72] offset1:3
	ds_write_b64 v173, v[116:117] offset:48
	v_add_f64 v[60:61], v[86:87], -v[96:97]
	v_add_f64 v[81:82], v[100:101], -v[102:103]
	v_fma_f64 v[69:70], v[128:129], s[4:5], v[108:109]
	ds_write2_b64 v172, v[75:76], v[79:80] offset1:3
	ds_write_b64 v172, v[118:119] offset:48
	v_add_f64 v[71:72], v[120:121], v[92:93]
	v_fma_f64 v[75:76], v[145:146], s[6:7], v[122:123]
	v_fma_f64 v[79:80], v[145:146], s[4:5], v[122:123]
	ds_write2_b64 v134, v[83:84], v[88:89] offset1:3
	v_mul_lo_u16 v89, v132, 57
	v_add_f64 v[85:86], v[126:127], v[94:95]
	v_fma_f64 v[90:91], v[73:74], s[6:7], v[124:125]
	v_add_f64 v[83:84], v[141:142], v[106:107]
	v_add_f64 v[96:97], v[139:140], v[112:113]
	v_fma_f64 v[73:74], v[73:74], s[4:5], v[124:125]
	v_add_f64 v[64:65], v[64:65], v[98:99]
	v_add_f64 v[92:93], v[130:131], v[104:105]
	v_lshrrev_b16 v175, 9, v89
	v_fma_f64 v[87:88], v[77:78], s[6:7], v[137:138]
	v_fma_f64 v[77:78], v[77:78], s[4:5], v[137:138]
	v_mul_lo_u16 v89, v198, 57
	v_fma_f64 v[100:101], v[67:68], s[6:7], v[62:63]
	v_fma_f64 v[62:63], v[67:68], s[4:5], v[62:63]
	;; [unrolled: 1-line block ×5, first 2 shown]
	v_lshrrev_b16 v199, 9, v89
	v_fma_f64 v[60:61], v[60:61], s[4:5], v[143:144]
	ds_write_b64 v134, v[69:70] offset:48
	ds_write2_b64 v66, v[71:72], v[75:76] offset1:3
	ds_write_b64 v66, v[79:80] offset:48
	v_mul_lo_u16 v66, v175, 9
	v_mov_b32_e32 v76, 9
	v_mul_lo_u16 v69, v199, 9
	ds_write2_b64 v133, v[85:86], v[90:91] offset1:3
	ds_write_b64 v133, v[73:74] offset:48
	ds_write2_b64 v152, v[92:93], v[94:95] offset1:3
	ds_write_b64 v152, v[81:82] offset:48
	v_sub_nc_u16 v176, v174, v66
	v_sub_nc_u16 v200, v195, v69
	ds_write2_b64 v153, v[83:84], v[87:88] offset1:3
	ds_write_b64 v153, v[77:78] offset:48
	ds_write2_b64 v154, v[96:97], v[100:101] offset1:3
	ds_write_b64 v154, v[62:63] offset:48
	ds_write2_b64 v155, v[64:65], v[67:68] offset1:3
	v_mul_u32_u24_sdwa v66, v176, v76 dst_sel:DWORD dst_unused:UNUSED_PAD src0_sel:BYTE_0 src1_sel:DWORD
	v_mul_u32_u24_sdwa v62, v200, v76 dst_sel:DWORD dst_unused:UNUSED_PAD src0_sel:BYTE_0 src1_sel:DWORD
	ds_write_b64 v155, v[60:61] offset:48
	s_waitcnt lgkmcnt(0)
	s_barrier
	v_lshlrev_b32_e32 v152, 4, v66
	v_lshlrev_b32_e32 v153, 4, v62
	buffer_gl0_inv
	s_clause 0x3
	global_load_dwordx4 v[64:67], v152, s[8:9] offset:112
	global_load_dwordx4 v[72:75], v153, s[8:9] offset:112
	;; [unrolled: 1-line block ×4, first 2 shown]
	v_mov_b32_e32 v77, 0xe38f
	s_clause 0x3
	global_load_dwordx4 v[100:103], v152, s[8:9] offset:176
	global_load_dwordx4 v[88:91], v152, s[8:9] offset:208
	;; [unrolled: 1-line block ×4, first 2 shown]
	v_mul_u32_u24_sdwa v77, v196, v77 dst_sel:DWORD dst_unused:UNUSED_PAD src0_sel:WORD_0 src1_sel:DWORD
	v_mov_b32_e32 v204, 0x2d0
	v_lshlrev_b32_sdwa v173, v193, v176 dst_sel:DWORD dst_unused:UNUSED_PAD src0_sel:DWORD src1_sel:BYTE_0
	v_lshrrev_b32_e32 v201, 19, v77
	v_mul_u32_u24_sdwa v172, v175, v204 dst_sel:DWORD dst_unused:UNUSED_PAD src0_sel:WORD_0 src1_sel:DWORD
	v_mul_lo_u16 v77, v201, 9
	v_add3_u32 v203, 0, v172, v173
	v_sub_nc_u16 v202, v196, v77
	v_mul_u32_u24_sdwa v84, v202, v76 dst_sel:DWORD dst_unused:UNUSED_PAD src0_sel:WORD_0 src1_sel:DWORD
	global_load_dwordx4 v[76:79], v153, s[8:9] offset:96
	v_lshlrev_b32_e32 v164, 4, v84
	s_clause 0x11
	global_load_dwordx4 v[92:95], v164, s[8:9] offset:96
	global_load_dwordx4 v[84:87], v152, s[8:9] offset:128
	;; [unrolled: 1-line block ×18, first 2 shown]
	ds_read2_b64 v[168:171], v181 offset0:136 offset1:244
	ds_read2_b64 v[205:208], v185 offset0:16 offset1:124
	ds_read2_b64 v[209:212], v191 offset0:24 offset1:132
	ds_read2_b64 v[213:216], v189 offset0:32 offset1:140
	ds_read2_b64 v[217:220], v187 offset0:48 offset1:156
	ds_read2_b64 v[221:224], v190 offset0:96 offset1:204
	ds_read2_b64 v[225:228], v179 offset0:56 offset1:164
	ds_read2_b64 v[229:232], v188 offset0:104 offset1:212
	s_waitcnt vmcnt(26) lgkmcnt(7)
	v_mul_f64 v[233:234], v[168:169], v[66:67]
	v_mul_f64 v[66:67], v[56:57], v[66:67]
	s_waitcnt vmcnt(24) lgkmcnt(6)
	v_mul_f64 v[241:242], v[205:206], v[70:71]
	v_mul_f64 v[70:71], v[52:53], v[70:71]
	s_waitcnt vmcnt(23)
	v_mul_f64 v[243:244], v[207:208], v[62:63]
	s_waitcnt vmcnt(22) lgkmcnt(5)
	v_mul_f64 v[245:246], v[209:210], v[102:103]
	v_mul_f64 v[102:103], v[48:49], v[102:103]
	s_waitcnt vmcnt(20)
	v_mul_f64 v[247:248], v[211:212], v[98:99]
	v_mul_f64 v[249:250], v[50:51], v[98:99]
	s_waitcnt lgkmcnt(4)
	v_mul_f64 v[251:252], v[213:214], v[90:91]
	s_waitcnt vmcnt(19)
	v_mul_f64 v[253:254], v[215:216], v[82:83]
	v_mul_f64 v[172:173], v[46:47], v[82:83]
	;; [unrolled: 1-line block ×5, first 2 shown]
	v_fma_f64 v[175:176], v[56:57], v[64:65], v[233:234]
	v_fma_f64 v[64:65], v[168:169], v[64:65], -v[66:67]
	v_fma_f64 v[66:67], v[52:53], v[68:69], v[241:242]
	v_fma_f64 v[52:53], v[205:206], v[68:69], -v[70:71]
	v_mul_f64 v[68:69], v[44:45], v[90:91]
	v_fma_f64 v[90:91], v[54:55], v[60:61], v[243:244]
	v_fma_f64 v[54:55], v[48:49], v[100:101], v[245:246]
	v_fma_f64 v[48:49], v[209:210], v[100:101], -v[102:103]
	s_waitcnt vmcnt(18) lgkmcnt(3)
	v_mul_f64 v[100:101], v[217:218], v[78:79]
	v_mul_f64 v[78:79], v[40:41], v[78:79]
	s_waitcnt vmcnt(16) lgkmcnt(2)
	v_mul_f64 v[209:210], v[223:224], v[86:87]
	v_mul_f64 v[86:87], v[30:31], v[86:87]
	v_fma_f64 v[82:83], v[50:51], v[96:97], v[247:248]
	v_fma_f64 v[70:71], v[211:212], v[96:97], -v[249:250]
	v_mul_f64 v[96:97], v[219:220], v[94:95]
	v_mul_f64 v[102:103], v[42:43], v[94:95]
	v_fma_f64 v[50:51], v[44:45], v[88:89], v[251:252]
	s_waitcnt vmcnt(15)
	v_mul_f64 v[211:212], v[221:222], v[118:119]
	v_fma_f64 v[94:95], v[46:47], v[80:81], v[253:254]
	v_mul_f64 v[46:47], v[28:29], v[118:119]
	v_fma_f64 v[98:99], v[58:59], v[72:73], v[235:236]
	ds_read2_b64 v[233:236], v182 offset0:64 offset1:172
	v_fma_f64 v[72:73], v[170:171], v[72:73], -v[74:75]
	ds_read2_b64 v[168:171], v178 offset0:112 offset1:220
	ds_read2_b64 v[237:240], v186 offset0:72 offset1:180
	;; [unrolled: 1-line block ×3, first 2 shown]
	s_waitcnt vmcnt(14) lgkmcnt(5)
	v_mul_f64 v[118:119], v[225:226], v[110:111]
	v_fma_f64 v[44:45], v[213:214], v[88:89], -v[68:69]
	v_fma_f64 v[68:69], v[215:216], v[80:81], -v[172:173]
	v_mul_f64 v[80:81], v[36:37], v[110:111]
	s_waitcnt vmcnt(13)
	v_mul_f64 v[172:173], v[227:228], v[114:115]
	s_waitcnt vmcnt(12) lgkmcnt(4)
	v_mul_f64 v[215:216], v[231:232], v[106:107]
	v_fma_f64 v[245:246], v[40:41], v[76:77], v[100:101]
	v_fma_f64 v[110:111], v[217:218], v[76:77], -v[78:79]
	v_mul_f64 v[76:77], v[18:19], v[106:107]
	s_waitcnt vmcnt(11)
	v_mul_f64 v[78:79], v[229:230], v[122:123]
	v_fma_f64 v[209:210], v[30:31], v[84:85], v[209:210]
	v_fma_f64 v[30:31], v[223:224], v[84:85], -v[86:87]
	s_waitcnt vmcnt(8)
	v_mul_f64 v[84:85], v[14:15], v[134:135]
	v_mul_f64 v[213:214], v[38:39], v[114:115]
	v_fma_f64 v[40:41], v[42:43], v[92:93], v[96:97]
	v_mul_f64 v[42:43], v[16:17], v[122:123]
	v_fma_f64 v[88:89], v[219:220], v[92:93], -v[102:103]
	s_waitcnt lgkmcnt(3)
	v_mul_f64 v[122:123], v[235:236], v[130:131]
	v_fma_f64 v[102:103], v[28:29], v[116:117], v[211:212]
	s_waitcnt vmcnt(6) lgkmcnt(1)
	v_mul_f64 v[211:212], v[237:238], v[142:143]
	v_fma_f64 v[86:87], v[221:222], v[116:117], -v[46:47]
	v_mul_f64 v[46:47], v[24:25], v[142:143]
	s_waitcnt vmcnt(5)
	v_mul_f64 v[116:117], v[239:240], v[146:147]
	v_mul_f64 v[142:143], v[26:27], v[146:147]
	s_waitcnt vmcnt(4) lgkmcnt(0)
	v_mul_f64 v[146:147], v[243:244], v[150:151]
	v_fma_f64 v[114:115], v[225:226], v[108:109], -v[80:81]
	v_mul_f64 v[80:81], v[10:11], v[150:151]
	ds_read2_b64 v[56:59], v184 offset0:88 offset1:196
	v_mul_f64 v[96:97], v[233:234], v[126:127]
	v_mul_f64 v[92:93], v[32:33], v[126:127]
	;; [unrolled: 1-line block ×5, first 2 shown]
	v_fma_f64 v[118:119], v[36:37], v[108:109], v[118:119]
	v_fma_f64 v[36:37], v[38:39], v[112:113], v[172:173]
	s_waitcnt vmcnt(2)
	v_mul_f64 v[38:39], v[241:242], v[162:163]
	v_fma_f64 v[215:216], v[18:19], v[104:105], v[215:216]
	v_fma_f64 v[18:19], v[231:232], v[104:105], -v[76:77]
	v_fma_f64 v[108:109], v[16:17], v[120:121], v[78:79]
	v_fma_f64 v[16:17], v[170:171], v[132:133], -v[84:85]
	v_mul_f64 v[138:139], v[12:13], v[138:139]
	v_fma_f64 v[28:29], v[34:35], v[128:129], v[122:123]
	v_fma_f64 v[74:75], v[207:208], v[60:61], -v[62:63]
	ds_read2_b64 v[205:208], v192 offset0:80 offset1:188
	v_fma_f64 v[106:107], v[227:228], v[112:113], -v[213:214]
	v_mul_f64 v[162:163], v[8:9], v[162:163]
	v_fma_f64 v[34:35], v[10:11], v[148:149], v[146:147]
	s_waitcnt lgkmcnt(1)
	v_mul_f64 v[150:151], v[58:59], v[158:159]
	v_mul_f64 v[158:159], v[2:3], v[158:159]
	v_fma_f64 v[10:11], v[243:244], v[148:149], -v[80:81]
	v_fma_f64 v[100:101], v[229:230], v[120:121], -v[42:43]
	v_fma_f64 v[32:33], v[32:33], v[124:125], v[96:97]
	v_fma_f64 v[80:81], v[239:240], v[144:145], -v[142:143]
	v_fma_f64 v[14:15], v[14:15], v[132:133], v[130:131]
	v_fma_f64 v[112:113], v[12:13], v[136:137], v[134:135]
	;; [unrolled: 1-line block ×3, first 2 shown]
	s_waitcnt vmcnt(0)
	v_mul_f64 v[76:77], v[22:23], v[166:167]
	v_fma_f64 v[116:117], v[8:9], v[160:161], v[38:39]
	v_fma_f64 v[104:105], v[233:234], v[124:125], -v[92:93]
	v_fma_f64 v[92:93], v[235:236], v[128:129], -v[126:127]
	v_add_f64 v[120:121], v[209:210], -v[215:216]
	v_add_f64 v[26:27], v[18:19], v[16:17]
	v_fma_f64 v[84:85], v[168:169], v[136:137], -v[138:139]
	s_waitcnt lgkmcnt(0)
	v_mul_f64 v[172:173], v[205:206], v[154:155]
	v_mul_f64 v[154:155], v[20:21], v[154:155]
	;; [unrolled: 1-line block ×3, first 2 shown]
	v_add_f64 v[124:125], v[30:31], -v[18:19]
	v_add_f64 v[146:147], v[18:19], -v[16:17]
	;; [unrolled: 1-line block ×3, first 2 shown]
	v_fma_f64 v[42:43], v[2:3], v[156:157], v[150:151]
	v_fma_f64 v[8:9], v[58:59], v[156:157], -v[158:159]
	v_add_f64 v[138:139], v[30:31], v[10:11]
	v_add_f64 v[150:151], v[209:210], v[34:35]
	v_fma_f64 v[58:59], v[241:242], v[160:161], -v[162:163]
	v_add_f64 v[126:127], v[10:11], -v[16:17]
	v_add_f64 v[136:137], v[215:216], v[14:15]
	v_add_f64 v[142:143], v[215:216], -v[14:15]
	v_add_f64 v[144:145], v[30:31], -v[10:11]
	;; [unrolled: 1-line block ×5, first 2 shown]
	v_add_f64 v[162:163], v[175:176], v[50:51]
	v_add_f64 v[221:222], v[32:33], -v[118:119]
	v_fma_f64 v[24:25], v[24:25], v[140:141], v[211:212]
	v_fma_f64 v[96:97], v[237:238], v[140:141], -v[46:47]
	v_fma_f64 v[20:21], v[20:21], v[152:153], v[172:173]
	v_add_f64 v[172:173], v[118:119], -v[32:33]
	v_fma_f64 v[2:3], v[22:23], v[164:165], v[213:214]
	v_add_f64 v[22:23], v[66:67], v[54:55]
	v_fma_f64 v[78:79], v[205:206], v[152:153], -v[154:155]
	v_add_f64 v[122:123], v[34:35], -v[14:15]
	v_add_f64 v[130:131], v[42:43], v[209:210]
	v_fma_f64 v[26:27], v[26:27], -0.5, v[8:9]
	v_fma_f64 v[138:139], v[138:139], -0.5, v[8:9]
	v_add_f64 v[209:210], v[245:246], v[118:119]
	v_fma_f64 v[150:151], v[150:151], -0.5, v[42:43]
	v_add_f64 v[128:129], v[4:5], v[175:176]
	v_fma_f64 v[42:43], v[136:137], -0.5, v[42:43]
	v_add_f64 v[132:133], v[64:65], -v[44:45]
	v_add_f64 v[140:141], v[52:53], -v[48:49]
	;; [unrolled: 1-line block ×4, first 2 shown]
	v_add_f64 v[124:125], v[124:125], v[126:127]
	v_add_f64 v[158:159], v[158:159], v[160:161]
	v_add_f64 v[152:153], v[14:15], -v[34:35]
	v_fma_f64 v[76:77], v[207:208], v[164:165], -v[76:77]
	v_add_f64 v[38:39], v[175:176], -v[66:67]
	v_add_f64 v[219:220], v[118:119], v[20:21]
	v_add_f64 v[239:240], v[118:119], -v[20:21]
	v_add_f64 v[46:47], v[50:51], -v[54:55]
	v_fma_f64 v[22:23], v[22:23], -0.5, v[4:5]
	v_fma_f64 v[4:5], v[162:163], -0.5, v[4:5]
	v_add_f64 v[164:165], v[90:91], v[82:83]
	v_add_f64 v[130:131], v[130:131], v[215:216]
	v_fma_f64 v[118:119], v[134:135], s[0:1], v[26:27]
	v_fma_f64 v[136:137], v[142:143], s[16:17], v[138:139]
	;; [unrolled: 1-line block ×8, first 2 shown]
	v_add_f64 v[166:167], v[98:99], v[94:95]
	v_add_f64 v[217:218], v[32:33], v[24:25]
	v_add_f64 v[223:224], v[24:25], -v[20:21]
	v_add_f64 v[241:242], v[114:115], v[78:79]
	v_add_f64 v[243:244], v[104:105], v[96:97]
	v_add_f64 v[120:121], v[120:121], v[122:123]
	v_add_f64 v[128:129], v[128:129], v[66:67]
	v_add_f64 v[211:212], v[211:212], v[213:214]
	v_add_f64 v[154:155], v[66:67], -v[175:176]
	v_add_f64 v[156:157], v[54:55], -v[50:51]
	v_fma_f64 v[213:214], v[132:133], s[16:17], v[22:23]
	v_fma_f64 v[22:23], v[132:133], s[0:1], v[22:23]
	v_add_f64 v[148:149], v[148:149], v[152:153]
	v_add_f64 v[207:208], v[6:7], v[98:99]
	v_fma_f64 v[118:119], v[142:143], s[12:13], v[118:119]
	v_fma_f64 v[136:137], v[134:135], s[12:13], v[136:137]
	;; [unrolled: 1-line block ×10, first 2 shown]
	v_add_f64 v[225:226], v[104:105], -v[114:115]
	v_add_f64 v[227:228], v[96:97], -v[78:79]
	;; [unrolled: 1-line block ×6, first 2 shown]
	v_fma_f64 v[162:163], v[164:165], -0.5, v[6:7]
	v_fma_f64 v[6:7], v[166:167], -0.5, v[6:7]
	v_add_f64 v[164:165], v[114:115], -v[104:105]
	v_add_f64 v[166:167], v[78:79], -v[96:97]
	v_add_f64 v[38:39], v[38:39], v[46:47]
	v_fma_f64 v[243:244], v[243:244], -0.5, v[110:111]
	v_fma_f64 v[247:248], v[124:125], s[10:11], v[118:119]
	v_fma_f64 v[136:137], v[158:159], s[10:11], v[136:137]
	;; [unrolled: 1-line block ×4, first 2 shown]
	v_fma_f64 v[124:125], v[217:218], -0.5, v[245:246]
	v_fma_f64 v[217:218], v[219:220], -0.5, v[245:246]
	v_add_f64 v[32:33], v[209:210], v[32:33]
	v_add_f64 v[209:210], v[221:222], v[223:224]
	v_fma_f64 v[221:222], v[241:242], -0.5, v[110:111]
	v_add_f64 v[128:129], v[128:129], v[54:55]
	v_add_f64 v[14:15], v[130:131], v[14:15]
	v_fma_f64 v[130:131], v[140:141], s[14:15], v[213:214]
	v_fma_f64 v[150:151], v[132:133], s[14:15], v[150:151]
	;; [unrolled: 1-line block ×6, first 2 shown]
	v_add_f64 v[154:155], v[154:155], v[156:157]
	v_fma_f64 v[140:141], v[148:149], s[10:11], v[215:216]
	v_fma_f64 v[144:145], v[148:149], s[10:11], v[144:145]
	v_add_f64 v[168:169], v[98:99], -v[90:91]
	v_add_f64 v[170:171], v[94:95], -v[82:83]
	v_mul_f64 v[42:43], v[247:248], s[14:15]
	v_mul_f64 v[148:149], v[136:137], s[16:17]
	;; [unrolled: 1-line block ×4, first 2 shown]
	v_add_f64 v[205:206], v[20:21], -v[24:25]
	v_add_f64 v[231:232], v[72:73], -v[68:69]
	v_add_f64 v[158:159], v[106:107], v[76:77]
	v_add_f64 v[26:27], v[92:93], v[80:81]
	;; [unrolled: 1-line block ×5, first 2 shown]
	v_fma_f64 v[207:208], v[229:230], s[0:1], v[6:7]
	v_fma_f64 v[223:224], v[239:240], s[0:1], v[243:244]
	;; [unrolled: 1-line block ×5, first 2 shown]
	v_add_f64 v[14:15], v[14:15], v[34:35]
	v_fma_f64 v[34:35], v[237:238], s[16:17], v[124:125]
	v_fma_f64 v[221:222], v[233:234], s[0:1], v[221:222]
	v_add_f64 v[128:129], v[128:129], v[50:51]
	v_fma_f64 v[130:131], v[38:39], s[10:11], v[130:131]
	v_fma_f64 v[22:23], v[38:39], s[10:11], v[22:23]
	;; [unrolled: 1-line block ×10, first 2 shown]
	v_add_f64 v[138:139], v[28:29], v[12:13]
	v_add_f64 v[142:143], v[36:37], v[2:3]
	v_add_f64 v[152:153], v[36:37], -v[2:3]
	v_add_f64 v[168:169], v[168:169], v[170:171]
	v_add_f64 v[170:171], v[28:29], -v[12:13]
	v_add_f64 v[172:173], v[172:173], v[205:206]
	v_fma_f64 v[225:226], v[231:232], s[16:17], v[162:163]
	v_add_f64 v[24:25], v[32:33], v[24:25]
	v_fma_f64 v[32:33], v[233:234], s[12:13], v[223:224]
	v_fma_f64 v[162:163], v[231:232], s[0:1], v[162:163]
	v_fma_f64 v[124:125], v[237:238], s[0:1], v[124:125]
	v_fma_f64 v[207:208], v[231:232], s[14:15], v[207:208]
	v_fma_f64 v[213:214], v[239:240], s[12:13], v[241:242]
	v_fma_f64 v[6:7], v[231:232], s[12:13], v[6:7]
	v_fma_f64 v[223:224], v[237:238], s[14:15], v[227:228]
	v_fma_f64 v[221:222], v[239:240], s[14:15], v[221:222]
	v_fma_f64 v[34:35], v[235:236], s[14:15], v[34:35]
	v_fma_f64 v[158:159], v[158:159], -0.5, v[88:89]
	v_add_f64 v[227:228], v[128:129], v[14:15]
	v_add_f64 v[14:15], v[128:129], -v[14:15]
	v_add_f64 v[128:129], v[130:131], v[38:39]
	v_fma_f64 v[26:27], v[26:27], -0.5, v[88:89]
	v_fma_f64 v[217:218], v[237:238], s[12:13], v[217:218]
	v_add_f64 v[231:232], v[150:151], v[42:43]
	v_add_f64 v[237:238], v[4:5], v[148:149]
	;; [unrolled: 1-line block ×4, first 2 shown]
	v_fma_f64 v[160:161], v[233:234], s[14:15], v[160:161]
	ds_read2_b64 v[60:63], v180 offset1:108
	s_waitcnt lgkmcnt(0)
	s_barrier
	buffer_gl0_inv
	v_add_f64 v[46:47], v[108:109], v[112:113]
	v_add_f64 v[126:127], v[106:107], -v[92:93]
	v_add_f64 v[156:157], v[76:77], -v[80:81]
	v_add_f64 v[205:206], v[92:93], -v[106:107]
	v_add_f64 v[146:147], v[80:81], -v[76:77]
	v_add_f64 v[219:220], v[92:93], -v[80:81]
	v_fma_f64 v[138:139], v[138:139], -0.5, v[40:41]
	v_fma_f64 v[142:143], v[142:143], -0.5, v[40:41]
	v_fma_f64 v[225:226], v[229:230], s[14:15], v[225:226]
	v_add_f64 v[20:21], v[24:25], v[20:21]
	v_fma_f64 v[233:234], v[164:165], s[10:11], v[32:33]
	v_fma_f64 v[24:25], v[229:230], s[12:13], v[162:163]
	;; [unrolled: 1-line block ×8, first 2 shown]
	v_add_f64 v[34:35], v[130:131], -v[38:39]
	v_add_f64 v[38:39], v[150:151], -v[42:43]
	ds_write2_b64 v203, v[227:228], v[128:129] offset1:9
	ds_write2_b64 v203, v[231:232], v[237:238] offset0:18 offset1:27
	ds_write2_b64 v203, v[239:240], v[14:15] offset0:36 offset1:45
	v_add_f64 v[14:15], v[106:107], -v[76:77]
	v_fma_f64 v[42:43], v[152:153], s[0:1], v[26:27]
	v_fma_f64 v[130:131], v[170:171], s[16:17], v[158:159]
	;; [unrolled: 1-line block ×5, first 2 shown]
	v_add_f64 v[40:41], v[40:41], v[36:37]
	v_fma_f64 v[122:123], v[122:123], -0.5, v[0:1]
	v_add_f64 v[164:165], v[100:101], -v[84:85]
	v_fma_f64 v[207:208], v[209:210], s[10:11], v[223:224]
	v_fma_f64 v[209:210], v[209:210], s[10:11], v[217:218]
	;; [unrolled: 1-line block ×4, first 2 shown]
	v_add_f64 v[158:159], v[36:37], -v[28:29]
	v_add_f64 v[160:161], v[2:3], -v[12:13]
	v_fma_f64 v[46:47], v[46:47], -0.5, v[0:1]
	v_add_f64 v[0:1], v[0:1], v[102:103]
	v_add_f64 v[36:37], v[28:29], -v[36:37]
	v_add_f64 v[168:169], v[12:13], -v[2:3]
	v_fma_f64 v[217:218], v[219:220], s[0:1], v[142:143]
	v_add_f64 v[126:127], v[126:127], v[156:157]
	v_add_f64 v[156:157], v[86:87], -v[58:59]
	v_add_f64 v[146:147], v[205:206], v[146:147]
	v_fma_f64 v[205:206], v[14:15], s[16:17], v[138:139]
	v_fma_f64 v[42:43], v[170:171], s[12:13], v[42:43]
	;; [unrolled: 1-line block ×7, first 2 shown]
	v_add_f64 v[28:29], v[40:41], v[28:29]
	v_add_f64 v[40:41], v[108:109], -v[102:103]
	v_add_f64 v[223:224], v[112:113], -v[116:117]
	v_fma_f64 v[225:226], v[164:165], s[0:1], v[122:123]
	v_fma_f64 v[122:123], v[164:165], s[16:17], v[122:123]
	v_add_f64 v[22:23], v[22:23], -v[154:155]
	v_mul_f64 v[154:155], v[162:163], s[16:17]
	v_mul_f64 v[152:153], v[211:212], s[16:17]
	v_add_f64 v[170:171], v[102:103], -v[108:109]
	v_add_f64 v[221:222], v[116:117], -v[112:113]
	v_add_f64 v[36:37], v[36:37], v[168:169]
	v_fma_f64 v[168:169], v[14:15], s[14:15], v[217:218]
	v_add_f64 v[158:159], v[158:159], v[160:161]
	v_fma_f64 v[160:161], v[156:157], s[16:17], v[46:47]
	;; [unrolled: 2-line block ×3, first 2 shown]
	v_fma_f64 v[217:218], v[126:127], s[10:11], v[42:43]
	v_fma_f64 v[14:15], v[14:15], s[12:13], v[142:143]
	;; [unrolled: 1-line block ×7, first 2 shown]
	v_add_f64 v[166:167], v[166:167], v[82:83]
	v_fma_f64 v[138:139], v[172:173], s[10:11], v[32:33]
	v_mul_f64 v[150:151], v[128:129], s[14:15]
	v_add_f64 v[12:13], v[28:29], v[12:13]
	v_add_f64 v[28:29], v[40:41], v[223:224]
	v_fma_f64 v[40:41], v[156:157], s[14:15], v[225:226]
	v_fma_f64 v[122:123], v[156:157], s[12:13], v[122:123]
	v_add_f64 v[156:157], v[52:53], v[48:49]
	v_fma_f64 v[26:27], v[207:208], s[10:11], v[154:155]
	v_fma_f64 v[146:147], v[209:210], s[22:23], v[152:153]
	;; [unrolled: 3-line block ×3, first 2 shown]
	v_add_f64 v[0:1], v[0:1], v[112:113]
	v_fma_f64 v[168:169], v[158:159], s[10:11], v[205:206]
	v_mul_f64 v[170:171], v[217:218], s[14:15]
	v_fma_f64 v[172:173], v[36:37], s[10:11], v[14:15]
	v_mul_f64 v[14:15], v[130:131], s[16:17]
	;; [unrolled: 2-line block ×4, first 2 shown]
	v_add_f64 v[8:9], v[8:9], v[30:31]
	v_add_f64 v[164:165], v[64:65], v[44:45]
	v_add_f64 v[4:5], v[4:5], -v[148:149]
	v_mul_f64 v[148:149], v[233:234], s[14:15]
	v_add_f64 v[205:206], v[60:61], v[64:65]
	v_add_f64 v[166:167], v[166:167], v[94:95]
	v_fma_f64 v[150:151], v[138:139], s[20:21], v[150:151]
	v_add_f64 v[175:176], v[175:176], -v[50:51]
	v_fma_f64 v[156:157], v[156:157], -0.5, v[60:61]
	v_add_f64 v[2:3], v[12:13], v[2:3]
	v_fma_f64 v[40:41], v[28:29], s[10:11], v[40:41]
	v_fma_f64 v[28:29], v[28:29], s[10:11], v[122:123]
	;; [unrolled: 1-line block ×3, first 2 shown]
	v_add_f64 v[0:1], v[0:1], v[116:117]
	v_add_f64 v[122:123], v[66:67], -v[54:55]
	v_fma_f64 v[50:51], v[168:169], s[18:19], v[170:171]
	v_add_f64 v[54:55], v[64:65], -v[52:53]
	v_fma_f64 v[14:15], v[154:155], s[10:11], v[14:15]
	v_fma_f64 v[36:37], v[152:153], s[10:11], v[36:37]
	;; [unrolled: 1-line block ×3, first 2 shown]
	v_mul_u32_u24_sdwa v152, v199, v204 dst_sel:DWORD dst_unused:UNUSED_PAD src0_sel:WORD_0 src1_sel:DWORD
	v_fma_f64 v[46:47], v[158:159], s[20:21], v[46:47]
	v_add_f64 v[8:9], v[8:9], v[18:19]
	v_fma_f64 v[18:19], v[164:165], -0.5, v[60:61]
	v_lshlrev_b32_sdwa v153, v193, v200 dst_sel:DWORD dst_unused:UNUSED_PAD src0_sel:DWORD src1_sel:BYTE_0
	v_fma_f64 v[148:149], v[215:216], s[18:19], v[148:149]
	v_add_f64 v[66:67], v[205:206], v[52:53]
	v_add_f64 v[32:33], v[166:167], v[20:21]
	v_add_f64 v[20:21], v[166:167], -v[20:21]
	v_add_f64 v[166:167], v[124:125], v[26:27]
	v_add_f64 v[26:27], v[124:125], -v[26:27]
	;; [unrolled: 2-line block ×3, first 2 shown]
	v_add_f64 v[60:61], v[44:45], -v[48:49]
	v_add_f64 v[146:147], v[24:25], v[150:151]
	v_add_f64 v[24:25], v[24:25], -v[150:151]
	v_fma_f64 v[150:151], v[175:176], s[0:1], v[156:157]
	v_add3_u32 v199, 0, v152, v153
	v_add_f64 v[152:153], v[0:1], v[2:3]
	v_add_f64 v[0:1], v[0:1], -v[2:3]
	v_add_f64 v[2:3], v[12:13], v[50:51]
	v_add_f64 v[12:13], v[12:13], -v[50:51]
	;; [unrolled: 2-line block ×6, first 2 shown]
	v_add_f64 v[46:47], v[48:49], -v[44:45]
	v_fma_f64 v[52:53], v[122:123], s[16:17], v[18:19]
	v_fma_f64 v[18:19], v[122:123], s[0:1], v[18:19]
	v_add_f64 v[30:31], v[213:214], v[148:149]
	v_add_f64 v[148:149], v[213:214], -v[148:149]
	v_add_f64 v[48:49], v[66:67], v[48:49]
	v_mul_u32_u24_e32 v66, 0x2d0, v201
	v_lshlrev_b32_sdwa v67, v193, v202 dst_sel:DWORD dst_unused:UNUSED_PAD src0_sel:DWORD src1_sel:WORD_0
	v_add_f64 v[60:61], v[54:55], v[60:61]
	v_mul_f64 v[54:55], v[247:248], s[18:19]
	v_fma_f64 v[64:65], v[122:123], s[12:13], v[150:151]
	ds_write2_b64 v203, v[34:35], v[38:39] offset0:54 offset1:63
	ds_write2_b64 v203, v[4:5], v[22:23] offset0:72 offset1:81
	ds_write2_b64 v199, v[32:33], v[30:31] offset1:9
	v_add3_u32 v200, 0, v66, v67
	ds_write2_b64 v199, v[166:167], v[124:125] offset0:18 offset1:27
	ds_write2_b64 v199, v[146:147], v[20:21] offset0:36 offset1:45
	;; [unrolled: 1-line block ×4, first 2 shown]
	ds_write2_b64 v200, v[152:153], v[2:3] offset1:9
	ds_write2_b64 v200, v[50:51], v[40:41] offset0:18 offset1:27
	ds_write2_b64 v200, v[42:43], v[0:1] offset0:36 offset1:45
	;; [unrolled: 1-line block ×4, first 2 shown]
	v_add_f64 v[4:5], v[16:17], v[46:47]
	v_fma_f64 v[6:7], v[175:176], s[12:13], v[52:53]
	v_fma_f64 v[16:17], v[175:176], s[14:15], v[18:19]
	v_mul_f64 v[18:19], v[136:137], s[10:11]
	v_mul_f64 v[24:25], v[134:135], s[22:23]
	v_add_f64 v[124:125], v[8:9], v[10:11]
	v_fma_f64 v[132:133], v[132:133], s[12:13], v[54:55]
	v_add_f64 v[134:135], v[48:49], v[44:45]
	v_fma_f64 v[136:137], v[60:61], s[10:11], v[64:65]
	v_add_f64 v[146:147], v[74:75], v[70:71]
	v_add_f64 v[148:149], v[72:73], v[68:69]
	;; [unrolled: 1-line block ×4, first 2 shown]
	v_fma_f64 v[156:157], v[175:176], s[16:17], v[156:157]
	v_add_f64 v[110:111], v[110:111], v[114:115]
	v_add_f64 v[94:95], v[98:99], -v[94:95]
	v_add_f64 v[82:83], v[90:91], -v[82:83]
	;; [unrolled: 1-line block ×4, first 2 shown]
	v_add_f64 v[88:89], v[88:89], v[106:107]
	s_waitcnt lgkmcnt(0)
	s_barrier
	buffer_gl0_inv
	v_fma_f64 v[150:151], v[4:5], s[10:11], v[6:7]
	v_fma_f64 v[152:153], v[4:5], s[10:11], v[16:17]
	;; [unrolled: 1-line block ×4, first 2 shown]
	ds_read2_b64 v[8:11], v180 offset1:108
	ds_read2_b64 v[0:3], v187 offset0:48 offset1:156
	ds_read2_b64 v[64:67], v179 offset0:56 offset1:164
	;; [unrolled: 1-line block ×4, first 2 shown]
	v_add_f64 v[90:91], v[134:135], v[124:125]
	v_add_f64 v[98:99], v[136:137], v[132:133]
	v_fma_f64 v[114:115], v[146:147], -0.5, v[62:63]
	v_add_f64 v[146:147], v[62:63], v[72:73]
	v_fma_f64 v[62:63], v[148:149], -0.5, v[62:63]
	;; [unrolled: 2-line block ×3, first 2 shown]
	v_fma_f64 v[56:57], v[164:165], -0.5, v[56:57]
	v_fma_f64 v[106:107], v[122:123], s[14:15], v[156:157]
	ds_read2_b64 v[12:15], v189 offset0:32 offset1:140
	ds_read2_b64 v[44:47], v181 offset0:136 offset1:244
	ds_read2_b64 v[36:39], v182 offset0:64 offset1:172
	ds_read2_b64 v[32:35], v183 offset0:120 offset1:228
	ds_read2_b64 v[4:7], v184 offset0:88 offset1:196
	ds_read2_b64 v[48:51], v185 offset0:16 offset1:124
	ds_read2_b64 v[40:43], v186 offset0:72 offset1:180
	ds_read2_b64 v[28:31], v190 offset0:96 offset1:204
	ds_read2_b64 v[24:27], v191 offset0:24 offset1:132
	ds_read2_b64 v[16:19], v192 offset0:80 offset1:188
	s_waitcnt lgkmcnt(0)
	s_barrier
	buffer_gl0_inv
	v_add_f64 v[104:105], v[110:111], v[104:105]
	v_add_f64 v[110:111], v[72:73], -v[74:75]
	v_add_f64 v[166:167], v[150:151], v[140:141]
	v_add_f64 v[170:171], v[152:153], v[144:145]
	v_add_f64 v[112:113], v[68:69], -v[70:71]
	v_add_f64 v[72:73], v[74:75], -v[72:73]
	;; [unrolled: 1-line block ×4, first 2 shown]
	v_fma_f64 v[122:123], v[94:95], s[0:1], v[114:115]
	v_add_f64 v[116:117], v[146:147], v[74:75]
	v_fma_f64 v[114:115], v[94:95], s[16:17], v[114:115]
	v_fma_f64 v[74:75], v[82:83], s[16:17], v[62:63]
	v_add_f64 v[146:147], v[70:71], -v[68:69]
	v_fma_f64 v[62:63], v[82:83], s[0:1], v[62:63]
	v_add_f64 v[148:149], v[148:149], v[100:101]
	ds_write2_b64 v203, v[90:91], v[98:99] offset1:9
	ds_write2_b64 v203, v[166:167], v[170:171] offset0:18 offset1:27
	v_add_f64 v[86:87], v[100:101], -v[86:87]
	v_add_f64 v[90:91], v[84:85], -v[58:59]
	v_fma_f64 v[98:99], v[102:103], s[0:1], v[160:161]
	v_fma_f64 v[100:101], v[108:109], s[16:17], v[56:57]
	v_add_f64 v[88:89], v[88:89], v[92:93]
	v_fma_f64 v[56:57], v[108:109], s[0:1], v[56:57]
	v_fma_f64 v[60:61], v[60:61], s[10:11], v[106:107]
	;; [unrolled: 1-line block ×3, first 2 shown]
	v_mul_f64 v[92:93], v[118:119], s[20:21]
	v_add_f64 v[96:97], v[104:105], v[96:97]
	v_add_f64 v[104:105], v[110:111], v[112:113]
	v_fma_f64 v[110:111], v[82:83], s[12:13], v[122:123]
	v_fma_f64 v[82:83], v[82:83], s[14:15], v[114:115]
	v_add_f64 v[70:71], v[116:117], v[70:71]
	v_mul_f64 v[112:113], v[233:234], s[18:19]
	v_add_f64 v[72:73], v[72:73], v[146:147]
	v_fma_f64 v[74:75], v[94:95], s[12:13], v[74:75]
	v_fma_f64 v[62:63], v[94:95], s[14:15], v[62:63]
	v_add_f64 v[94:95], v[156:157], v[164:165]
	v_add_f64 v[84:85], v[148:149], v[84:85]
	v_mul_f64 v[114:115], v[162:163], s[10:11]
	v_mul_f64 v[116:117], v[211:212], s[22:23]
	v_mul_f64 v[118:119], v[128:129], s[20:21]
	v_add_f64 v[86:87], v[86:87], v[90:91]
	v_fma_f64 v[90:91], v[108:109], s[12:13], v[98:99]
	v_fma_f64 v[98:99], v[102:103], s[12:13], v[100:101]
	v_add_f64 v[80:81], v[88:89], v[80:81]
	v_fma_f64 v[56:57], v[102:103], s[14:15], v[56:57]
	v_mul_f64 v[88:89], v[217:218], s[18:19]
	v_mul_f64 v[100:101], v[130:131], s[10:11]
	;; [unrolled: 1-line block ×3, first 2 shown]
	v_fma_f64 v[106:107], v[108:109], s[14:15], v[106:107]
	v_mul_f64 v[108:109], v[126:127], s[20:21]
	v_fma_f64 v[92:93], v[120:121], s[12:13], v[92:93]
	v_add_f64 v[78:79], v[96:97], v[78:79]
	v_add_f64 v[68:69], v[70:71], v[68:69]
	v_fma_f64 v[96:97], v[215:216], s[12:13], v[112:113]
	v_fma_f64 v[70:71], v[104:105], s[10:11], v[110:111]
	;; [unrolled: 1-line block ×5, first 2 shown]
	v_add_f64 v[58:59], v[84:85], v[58:59]
	v_fma_f64 v[72:73], v[207:208], s[0:1], v[114:115]
	v_fma_f64 v[104:105], v[209:210], s[0:1], v[116:117]
	v_fma_f64 v[110:111], v[138:139], s[12:13], v[118:119]
	v_add_f64 v[120:121], v[134:135], -v[124:125]
	v_fma_f64 v[84:85], v[94:95], s[10:11], v[90:91]
	v_fma_f64 v[90:91], v[86:87], s[10:11], v[98:99]
	v_add_f64 v[76:77], v[80:81], v[76:77]
	v_fma_f64 v[56:57], v[86:87], s[10:11], v[56:57]
	v_fma_f64 v[80:81], v[168:169], s[12:13], v[88:89]
	;; [unrolled: 1-line block ×6, first 2 shown]
	v_add_f64 v[98:99], v[60:61], v[92:93]
	v_add_f64 v[102:103], v[136:137], -v[132:133]
	v_add_f64 v[106:107], v[150:151], -v[140:141]
	;; [unrolled: 1-line block ×4, first 2 shown]
	v_add_f64 v[92:93], v[68:69], v[78:79]
	v_add_f64 v[112:113], v[70:71], v[96:97]
	v_add_f64 v[68:69], v[68:69], -v[78:79]
	v_add_f64 v[70:71], v[70:71], -v[96:97]
	v_add_f64 v[78:79], v[74:75], v[72:73]
	v_add_f64 v[72:73], v[74:75], -v[72:73]
	v_add_f64 v[74:75], v[62:63], v[104:105]
	v_add_f64 v[96:97], v[82:83], v[110:111]
	v_add_f64 v[62:63], v[62:63], -v[104:105]
	v_add_f64 v[82:83], v[82:83], -v[110:111]
	v_add_f64 v[104:105], v[58:59], v[76:77]
	v_add_f64 v[58:59], v[58:59], -v[76:77]
	v_add_f64 v[76:77], v[84:85], v[80:81]
	v_add_f64 v[110:111], v[90:91], v[86:87]
	;; [unrolled: 1-line block ×3, first 2 shown]
	v_add_f64 v[80:81], v[84:85], -v[80:81]
	v_add_f64 v[84:85], v[90:91], -v[86:87]
	v_add_f64 v[86:87], v[94:95], v[100:101]
	v_add_f64 v[56:57], v[56:57], -v[88:89]
	v_add_f64 v[88:89], v[94:95], -v[100:101]
	v_add_nc_u32_e32 v90, 0xffffffa6, v174
	v_cmp_gt_u32_e64 s0, 0x5a, v174
	ds_write2_b64 v203, v[98:99], v[120:121] offset0:36 offset1:45
	ds_write2_b64 v203, v[102:103], v[106:107] offset0:54 offset1:63
	;; [unrolled: 1-line block ×3, first 2 shown]
	v_mul_lo_u16 v60, 0xb7, v198
	v_mov_b32_e32 v100, 0
	ds_write2_b64 v199, v[92:93], v[112:113] offset1:9
	v_cndmask_b32_e64 v122, v90, v174, s0
	ds_write2_b64 v199, v[78:79], v[74:75] offset0:18 offset1:27
	ds_write2_b64 v199, v[96:97], v[68:69] offset0:36 offset1:45
	v_lshrrev_b16 v121, 14, v60
	ds_write2_b64 v199, v[70:71], v[72:73] offset0:54 offset1:63
	v_mul_i32_i24_e32 v99, 5, v122
	ds_write2_b64 v199, v[62:63], v[82:83] offset0:72 offset1:81
	ds_write2_b64 v200, v[104:105], v[76:77] offset1:9
	v_mul_lo_u16 v62, 0x5a, v121
	v_lshlrev_b64 v[60:61], 4, v[99:100]
	ds_write2_b64 v200, v[110:111], v[114:115] offset0:18 offset1:27
	ds_write2_b64 v200, v[86:87], v[58:59] offset0:36 offset1:45
	;; [unrolled: 1-line block ×3, first 2 shown]
	v_sub_nc_u16 v129, v195, v62
	ds_write2_b64 v200, v[56:57], v[88:89] offset0:72 offset1:81
	v_mov_b32_e32 v56, 0x2d83
	v_add_co_u32 v58, s0, s8, v60
	v_add_co_ci_u32_e64 v59, s0, s9, v61, s0
	v_mul_u32_u24_sdwa v57, v196, v56 dst_sel:DWORD dst_unused:UNUSED_PAD src0_sel:WORD_0 src1_sel:DWORD
	v_mul_u32_u24_sdwa v60, v129, v194 dst_sel:DWORD dst_unused:UNUSED_PAD src0_sel:BYTE_0 src1_sel:DWORD
	s_waitcnt lgkmcnt(0)
	s_barrier
	buffer_gl0_inv
	v_lshrrev_b32_e32 v127, 20, v57
	s_clause 0x1
	global_load_dwordx4 v[107:110], v[58:59], off offset:1424
	global_load_dwordx4 v[111:114], v[58:59], off offset:1456
	v_lshlrev_b32_e32 v57, 4, v60
	global_load_dwordx4 v[115:118], v[58:59], off offset:1408
	v_mul_lo_u16 v60, 0x5a, v127
	v_cmp_lt_u32_e64 s0, 0x59, v174
	v_lshlrev_b32_sdwa v129, v193, v129 dst_sel:DWORD dst_unused:UNUSED_PAD src0_sel:DWORD src1_sel:BYTE_0
	s_clause 0x2
	global_load_dwordx4 v[130:133], v57, s[8:9] offset:1408
	global_load_dwordx4 v[134:137], v[58:59], off offset:1392
	global_load_dwordx4 v[138:141], v[58:59], off offset:1440
	v_sub_nc_u16 v128, v196, v60
	global_load_dwordx4 v[142:145], v57, s[8:9] offset:1440
	v_mul_u32_u24_sdwa v59, v197, v56 dst_sel:DWORD dst_unused:UNUSED_PAD src0_sel:WORD_0 src1_sel:DWORD
	v_mul_u32_u24_sdwa v56, v177, v56 dst_sel:DWORD dst_unused:UNUSED_PAD src0_sel:WORD_0 src1_sel:DWORD
	;; [unrolled: 1-line block ×3, first 2 shown]
	v_lshrrev_b32_e32 v126, 20, v59
	v_lshrrev_b32_e32 v123, 20, v56
	v_lshlrev_b32_e32 v58, 4, v58
	s_clause 0x4
	global_load_dwordx4 v[146:149], v57, s[8:9] offset:1392
	global_load_dwordx4 v[150:153], v58, s[8:9] offset:1392
	;; [unrolled: 1-line block ×5, first 2 shown]
	v_mul_lo_u16 v59, 0x5a, v126
	v_mul_lo_u16 v56, 0x5a, v123
	v_sub_nc_u16 v125, v197, v59
	v_sub_nc_u16 v124, v177, v56
	v_mul_u32_u24_sdwa v59, v125, v194 dst_sel:DWORD dst_unused:UNUSED_PAD src0_sel:WORD_0 src1_sel:DWORD
	v_mul_u32_u24_sdwa v56, v124, v194 dst_sel:DWORD dst_unused:UNUSED_PAD src0_sel:WORD_0 src1_sel:DWORD
	v_lshlrev_b32_e32 v57, 4, v59
	s_clause 0x5
	global_load_dwordx4 v[166:169], v58, s[8:9] offset:1456
	global_load_dwordx4 v[195:198], v58, s[8:9] offset:1408
	;; [unrolled: 1-line block ×6, first 2 shown]
	v_lshlrev_b32_e32 v56, 4, v56
	s_clause 0x6
	global_load_dwordx4 v[84:87], v56, s[8:9] offset:1392
	global_load_dwordx4 v[80:83], v56, s[8:9] offset:1408
	global_load_dwordx4 v[88:91], v57, s[8:9] offset:1424
	global_load_dwordx4 v[60:63], v56, s[8:9] offset:1424
	global_load_dwordx4 v[76:79], v56, s[8:9] offset:1440
	global_load_dwordx4 v[72:75], v57, s[8:9] offset:1456
	global_load_dwordx4 v[68:71], v56, s[8:9] offset:1456
	ds_read2_b64 v[211:214], v179 offset0:56 offset1:164
	ds_read2_b64 v[215:218], v188 offset0:104 offset1:212
	;; [unrolled: 1-line block ×6, first 2 shown]
	s_waitcnt vmcnt(24)
	v_mul_f64 v[56:57], v[22:23], v[109:110]
	s_waitcnt vmcnt(23)
	v_mul_f64 v[103:104], v[14:15], v[113:114]
	s_waitcnt lgkmcnt(4)
	v_mul_f64 v[109:110], v[217:218], v[109:110]
	s_waitcnt vmcnt(22)
	v_mul_f64 v[105:106], v[211:212], v[117:118]
	v_mul_f64 v[117:118], v[64:65], v[117:118]
	s_waitcnt lgkmcnt(3)
	v_mul_f64 v[170:171], v[94:95], v[113:114]
	s_waitcnt vmcnt(21)
	v_mul_f64 v[119:120], v[213:214], v[132:133]
	s_waitcnt vmcnt(20)
	v_mul_f64 v[172:173], v[2:3], v[136:137]
	s_waitcnt vmcnt(19) lgkmcnt(2)
	v_mul_f64 v[175:176], v[219:220], v[140:141]
	v_mul_f64 v[132:133], v[66:67], v[132:133]
	;; [unrolled: 1-line block ×3, first 2 shown]
	v_fma_f64 v[101:102], v[217:218], v[107:108], -v[56:57]
	v_fma_f64 v[94:95], v[94:95], v[111:112], -v[103:104]
	s_waitcnt vmcnt(18)
	v_mul_f64 v[217:218], v[221:222], v[144:145]
	v_mul_f64 v[144:145], v[54:55], v[144:145]
	s_waitcnt vmcnt(17) lgkmcnt(1)
	v_mul_f64 v[231:232], v[223:224], v[148:149]
	v_mul_f64 v[148:149], v[44:45], v[148:149]
	ds_read2_b64 v[56:59], v187 offset0:48 offset1:156
	s_waitcnt vmcnt(16)
	v_mul_f64 v[233:234], v[225:226], v[152:153]
	v_fma_f64 v[103:104], v[64:65], v[115:116], v[105:106]
	v_fma_f64 v[105:106], v[211:212], v[115:116], -v[117:118]
	v_fma_f64 v[64:65], v[66:67], v[130:131], v[119:120]
	v_fma_f64 v[211:212], v[22:23], v[107:108], v[109:110]
	;; [unrolled: 1-line block ×4, first 2 shown]
	v_mul_f64 v[109:110], v[46:47], v[152:153]
	s_waitcnt vmcnt(15) lgkmcnt(1)
	v_mul_f64 v[111:112], v[227:228], v[156:157]
	v_mul_f64 v[152:153], v[36:37], v[156:157]
	ds_read2_b64 v[113:116], v183 offset0:120 offset1:228
	v_fma_f64 v[22:23], v[213:214], v[130:131], -v[132:133]
	v_fma_f64 v[117:118], v[219:220], v[138:139], -v[140:141]
	ds_read2_b64 v[130:133], v185 offset0:16 offset1:124
	v_add_f64 v[107:108], v[101:102], v[94:95]
	v_fma_f64 v[52:53], v[54:55], v[142:143], v[217:218]
	v_fma_f64 v[54:55], v[221:222], v[142:143], -v[144:145]
	s_waitcnt lgkmcnt(2)
	v_mul_f64 v[66:67], v[58:59], v[136:137]
	v_fma_f64 v[14:15], v[58:59], v[134:135], -v[172:173]
	v_fma_f64 v[144:145], v[44:45], v[146:147], v[231:232]
	v_fma_f64 v[58:59], v[223:224], v[146:147], -v[148:149]
	s_waitcnt vmcnt(13)
	v_mul_f64 v[44:45], v[229:230], v[160:161]
	v_mul_f64 v[148:149], v[32:33], v[164:165]
	ds_read2_b64 v[136:139], v186 offset0:72 offset1:180
	v_fma_f64 v[146:147], v[46:47], v[150:151], v[233:234]
	v_mul_f64 v[46:47], v[38:39], v[160:161]
	v_add_f64 v[160:161], v[211:212], -v[170:171]
	ds_read2_b64 v[140:143], v190 offset0:96 offset1:204
	s_waitcnt lgkmcnt(3)
	v_mul_f64 v[156:157], v[113:114], v[164:165]
	s_waitcnt vmcnt(12)
	v_mul_f64 v[172:173], v[115:116], v[168:169]
	v_mul_f64 v[168:169], v[34:35], v[168:169]
	s_waitcnt vmcnt(11) lgkmcnt(2)
	v_mul_f64 v[175:176], v[130:131], v[197:198]
	v_mul_f64 v[197:198], v[48:49], v[197:198]
	s_waitcnt vmcnt(10)
	v_mul_f64 v[213:214], v[132:133], v[201:202]
	v_fma_f64 v[2:3], v[2:3], v[134:135], v[66:67]
	v_add_f64 v[134:135], v[211:212], v[170:171]
	v_fma_f64 v[164:165], v[107:108], -0.5, v[14:15]
	v_fma_f64 v[66:67], v[225:226], v[150:151], -v[109:110]
	v_fma_f64 v[150:151], v[36:37], v[154:155], v[111:112]
	v_fma_f64 v[109:110], v[227:228], v[154:155], -v[152:153]
	v_mul_f64 v[152:153], v[50:51], v[201:202]
	s_waitcnt vmcnt(9) lgkmcnt(1)
	v_mul_f64 v[154:155], v[136:137], v[205:206]
	v_mul_f64 v[201:202], v[40:41], v[205:206]
	s_waitcnt vmcnt(8)
	v_mul_f64 v[205:206], v[138:139], v[209:210]
	v_mul_f64 v[209:210], v[42:43], v[209:210]
	v_fma_f64 v[219:220], v[38:39], v[158:159], v[44:45]
	v_fma_f64 v[44:45], v[113:114], v[162:163], -v[148:149]
	ds_read2_b64 v[36:39], v191 offset0:24 offset1:132
	s_waitcnt vmcnt(7) lgkmcnt(1)
	v_mul_f64 v[217:218], v[140:141], v[98:99]
	v_fma_f64 v[107:108], v[229:230], v[158:159], -v[46:47]
	v_fma_f64 v[148:149], v[32:33], v[162:163], v[156:157]
	v_add_f64 v[156:157], v[103:104], v[119:120]
	v_add_f64 v[158:159], v[101:102], -v[94:95]
	v_fma_f64 v[172:173], v[34:35], v[166:167], v[172:173]
	v_fma_f64 v[46:47], v[115:116], v[166:167], -v[168:169]
	v_fma_f64 v[34:35], v[48:49], v[195:196], v[175:176]
	v_fma_f64 v[32:33], v[130:131], v[195:196], -v[197:198]
	v_fma_f64 v[134:135], v[134:135], -0.5, v[2:3]
	v_fma_f64 v[162:163], v[160:161], s[6:7], v[164:165]
	v_mul_f64 v[130:131], v[28:29], v[98:99]
	s_waitcnt vmcnt(6)
	v_mul_f64 v[166:167], v[142:143], v[86:87]
	v_fma_f64 v[111:112], v[50:51], v[199:200], v[213:214]
	v_fma_f64 v[113:114], v[132:133], v[199:200], -v[152:153]
	v_fma_f64 v[115:116], v[40:41], v[203:204], v[154:155]
	v_fma_f64 v[50:51], v[136:137], v[203:204], -v[201:202]
	;; [unrolled: 2-line block ×3, first 2 shown]
	v_fma_f64 v[138:139], v[160:161], s[4:5], v[164:165]
	v_add_f64 v[132:133], v[109:110], v[44:45]
	s_waitcnt vmcnt(5)
	v_mul_f64 v[160:161], v[215:216], v[82:83]
	v_mul_f64 v[164:165], v[20:21], v[82:83]
	s_waitcnt vmcnt(4) lgkmcnt(0)
	v_mul_f64 v[168:169], v[36:37], v[90:91]
	v_mul_f64 v[90:91], v[24:25], v[90:91]
	ds_read2_b64 v[40:43], v192 offset0:80 offset1:188
	v_fma_f64 v[28:29], v[28:29], v[96:97], v[217:218]
	v_add_f64 v[2:3], v[2:3], v[211:212]
	v_add_f64 v[136:137], v[8:9], v[103:104]
	v_fma_f64 v[8:9], v[156:157], -0.5, v[8:9]
	v_add_f64 v[156:157], v[105:106], -v[117:118]
	v_fma_f64 v[152:153], v[158:159], s[4:5], v[134:135]
	v_mul_f64 v[154:155], v[162:163], s[4:5]
	v_mul_f64 v[86:87], v[30:31], v[86:87]
	v_fma_f64 v[82:83], v[140:141], v[96:97], -v[130:131]
	v_fma_f64 v[30:31], v[30:31], v[84:85], v[166:167]
	s_waitcnt vmcnt(3)
	v_mul_f64 v[96:97], v[38:39], v[62:63]
	v_mul_f64 v[130:131], v[26:27], v[62:63]
	s_waitcnt vmcnt(2)
	v_mul_f64 v[140:141], v[92:93], v[78:79]
	v_mul_f64 v[166:167], v[12:13], v[78:79]
	s_waitcnt vmcnt(1)
	v_mul_f64 v[194:195], v[16:17], v[74:75]
	v_add_f64 v[196:197], v[150:151], v[148:149]
	v_add_f64 v[198:199], v[150:151], -v[148:149]
	v_fma_f64 v[132:133], v[132:133], -0.5, v[58:59]
	v_fma_f64 v[134:135], v[158:159], s[6:7], v[134:135]
	v_mul_f64 v[158:159], v[138:139], s[4:5]
	s_waitcnt lgkmcnt(0)
	v_mul_f64 v[175:176], v[40:41], v[74:75]
	v_fma_f64 v[74:75], v[20:21], v[80:81], v[160:161]
	v_fma_f64 v[78:79], v[215:216], v[80:81], -v[164:165]
	v_fma_f64 v[20:21], v[24:25], v[88:89], v[168:169]
	v_fma_f64 v[80:81], v[36:37], v[88:89], -v[90:91]
	v_add_f64 v[24:25], v[107:108], v[46:47]
	s_waitcnt vmcnt(0)
	v_mul_f64 v[36:37], v[42:43], v[70:71]
	v_mul_f64 v[70:71], v[18:19], v[70:71]
	v_add_f64 v[2:3], v[2:3], v[170:171]
	v_add_f64 v[136:137], v[136:137], v[119:120]
	v_fma_f64 v[154:155], v[152:153], 0.5, v[154:155]
	v_fma_f64 v[170:171], v[156:157], s[4:5], v[8:9]
	v_fma_f64 v[62:63], v[142:143], v[84:85], -v[86:87]
	v_fma_f64 v[84:85], v[26:27], v[60:61], v[96:97]
	v_fma_f64 v[86:87], v[38:39], v[60:61], -v[130:131]
	;; [unrolled: 2-line block ×3, first 2 shown]
	v_add_f64 v[12:13], v[64:65], v[52:53]
	v_fma_f64 v[38:39], v[196:197], -0.5, v[144:145]
	v_add_f64 v[76:77], v[109:110], -v[44:45]
	v_fma_f64 v[90:91], v[198:199], s[6:7], v[132:133]
	v_fma_f64 v[8:9], v[156:157], s[6:7], v[8:9]
	v_fma_f64 v[92:93], v[134:135], -0.5, v[158:159]
	v_fma_f64 v[96:97], v[40:41], v[72:73], -v[194:195]
	v_add_f64 v[140:141], v[219:220], v[172:173]
	v_add_f64 v[142:143], v[219:220], -v[172:173]
	v_fma_f64 v[132:133], v[198:199], s[4:5], v[132:133]
	v_fma_f64 v[156:157], v[24:25], -0.5, v[66:67]
	v_fma_f64 v[16:17], v[16:17], v[72:73], v[175:176]
	v_fma_f64 v[158:159], v[42:43], v[68:69], -v[70:71]
	v_fma_f64 v[18:19], v[18:19], v[68:69], v[36:37]
	v_add_f64 v[40:41], v[136:137], v[2:3]
	v_add_f64 v[36:37], v[144:145], v[150:151]
	;; [unrolled: 1-line block ×4, first 2 shown]
	v_add_f64 v[150:151], v[22:23], -v[54:55]
	v_add_f64 v[2:3], v[136:137], -v[2:3]
	v_add_f64 v[164:165], v[34:35], v[115:116]
	v_add_f64 v[166:167], v[107:108], -v[46:47]
	v_fma_f64 v[10:11], v[12:13], -0.5, v[10:11]
	v_lshlrev_b32_e32 v26, 3, v122
	v_fma_f64 v[144:145], v[76:77], s[4:5], v[38:39]
	v_mul_f64 v[12:13], v[90:91], s[4:5]
	v_fma_f64 v[76:77], v[76:77], s[6:7], v[38:39]
	v_add_f64 v[136:137], v[8:9], v[92:93]
	v_add_f64 v[160:161], v[80:81], v[96:97]
	v_fma_f64 v[140:141], v[140:141], -0.5, v[146:147]
	v_add_f64 v[8:9], v[8:9], -v[92:93]
	v_mul_f64 v[38:39], v[132:133], s[4:5]
	v_fma_f64 v[168:169], v[142:143], s[6:7], v[156:157]
	v_cndmask_b32_e64 v27, 0, 0x10e0, s0
	v_add_f64 v[92:93], v[86:87], v[158:159]
	v_mov_b32_e32 v73, 0x10e0
	ds_read2_b64 v[69:72], v184 offset0:88 offset1:196
	v_add_f64 v[36:37], v[36:37], v[148:149]
	v_add3_u32 v68, 0, v27, v26
	ds_read2_b64 v[24:27], v180 offset1:108
	s_waitcnt lgkmcnt(0)
	s_barrier
	buffer_gl0_inv
	v_add_nc_u32_e32 v206, 0x400, v68
	ds_write2_b64 v68, v[40:41], v[130:131] offset1:90
	v_fma_f64 v[130:131], v[150:151], s[4:5], v[10:11]
	v_add_f64 v[40:41], v[170:171], -v[154:155]
	v_fma_f64 v[12:13], v[144:145], 0.5, v[12:13]
	v_add_f64 v[42:43], v[42:43], v[52:53]
	ds_write2_b64 v206, v[136:137], v[2:3] offset0:52 offset1:142
	v_add_f64 v[2:3], v[20:21], v[16:17]
	v_add_f64 v[136:137], v[20:21], -v[16:17]
	v_fma_f64 v[148:149], v[160:161], -0.5, v[82:83]
	v_add_f64 v[146:147], v[146:147], v[219:220]
	v_add_f64 v[154:155], v[4:5], v[34:35]
	v_fma_f64 v[4:5], v[164:165], -0.5, v[4:5]
	v_fma_f64 v[160:161], v[166:167], s[4:5], v[140:141]
	v_mul_f64 v[164:165], v[168:169], s[4:5]
	v_fma_f64 v[10:11], v[150:151], s[6:7], v[10:11]
	v_fma_f64 v[38:39], v[76:77], -0.5, v[38:39]
	v_mul_u32_u24_sdwa v73, v121, v73 dst_sel:DWORD dst_unused:UNUSED_PAD src0_sel:WORD_0 src1_sel:DWORD
	v_add_f64 v[121:122], v[84:85], v[18:19]
	v_add_f64 v[150:151], v[84:85], -v[18:19]
	v_fma_f64 v[92:93], v[92:93], -0.5, v[62:63]
	v_add_f64 v[170:171], v[32:33], -v[50:51]
	v_fma_f64 v[142:143], v[142:143], s[4:5], v[156:157]
	v_add_f64 v[175:176], v[111:112], v[98:99]
	v_add3_u32 v208, 0, v73, v129
	v_add_f64 v[196:197], v[80:81], -v[96:97]
	v_add_f64 v[194:195], v[130:131], v[12:13]
	v_add_f64 v[12:13], v[130:131], -v[12:13]
	v_add_f64 v[156:157], v[42:43], v[36:37]
	v_fma_f64 v[2:3], v[2:3], -0.5, v[28:29]
	v_add_f64 v[36:37], v[42:43], -v[36:37]
	v_fma_f64 v[198:199], v[136:137], s[6:7], v[148:149]
	v_fma_f64 v[129:130], v[136:137], s[4:5], v[148:149]
	v_add_f64 v[42:43], v[146:147], v[172:173]
	v_fma_f64 v[140:141], v[166:167], s[6:7], v[140:141]
	v_add_f64 v[166:167], v[86:87], -v[158:159]
	v_fma_f64 v[146:147], v[160:161], 0.5, v[164:165]
	v_add_f64 v[136:137], v[154:155], v[115:116]
	v_add_f64 v[164:165], v[10:11], v[38:39]
	v_add_f64 v[10:11], v[10:11], -v[38:39]
	v_add_f64 v[38:39], v[74:75], v[88:89]
	v_fma_f64 v[121:122], v[121:122], -0.5, v[30:31]
	v_fma_f64 v[172:173], v[150:151], s[6:7], v[92:93]
	v_fma_f64 v[148:149], v[170:171], s[4:5], v[4:5]
	v_mul_f64 v[154:155], v[142:143], s[4:5]
	v_fma_f64 v[175:176], v[175:176], -0.5, v[6:7]
	v_fma_f64 v[92:93], v[150:151], s[4:5], v[92:93]
	v_add_f64 v[6:7], v[6:7], v[111:112]
	v_add_f64 v[20:21], v[28:29], v[20:21]
	v_add_f64 v[200:201], v[113:114], -v[48:49]
	v_add_f64 v[30:31], v[30:31], v[84:85]
	v_fma_f64 v[150:151], v[196:197], s[4:5], v[2:3]
	v_fma_f64 v[196:197], v[196:197], s[6:7], v[2:3]
	v_mul_f64 v[28:29], v[198:199], s[4:5]
	v_mul_f64 v[2:3], v[129:130], s[4:5]
	v_add_f64 v[84:85], v[0:1], v[74:75]
	v_fma_f64 v[4:5], v[170:171], s[6:7], v[4:5]
	v_mul_u32_u24_e32 v73, 0x10e0, v127
	v_lshlrev_b32_sdwa v209, v193, v128 dst_sel:DWORD dst_unused:UNUSED_PAD src0_sel:DWORD src1_sel:WORD_0
	v_add_f64 v[202:203], v[136:137], v[42:43]
	v_add_nc_u32_e32 v207, 0x800, v68
	v_add_nc_u32_e32 v131, 0x400, v208
	v_fma_f64 v[0:1], v[38:39], -0.5, v[0:1]
	v_add_f64 v[38:39], v[78:79], -v[60:61]
	v_fma_f64 v[127:128], v[166:167], s[4:5], v[121:122]
	v_mul_f64 v[170:171], v[172:173], s[4:5]
	v_add_f64 v[204:205], v[148:149], v[146:147]
	v_fma_f64 v[154:155], v[140:141], -0.5, v[154:155]
	v_add_nc_u32_e32 v210, 0x800, v208
	v_add3_u32 v209, 0, v73, v209
	v_add_f64 v[16:17], v[20:21], v[16:17]
	v_add_f64 v[6:7], v[6:7], v[98:99]
	ds_write2_b64 v207, v[40:41], v[8:9] offset0:104 offset1:194
	ds_write2_b64 v208, v[156:157], v[194:195] offset1:90
	ds_write2_b64 v131, v[164:165], v[36:37] offset0:52 offset1:142
	ds_write2_b64 v210, v[12:13], v[10:11] offset0:104 offset1:194
	ds_write2_b64 v209, v[202:203], v[204:205] offset1:90
	v_fma_f64 v[20:21], v[150:151], 0.5, v[28:29]
	v_fma_f64 v[28:29], v[200:201], s[4:5], v[175:176]
	v_fma_f64 v[175:176], v[200:201], s[6:7], v[175:176]
	v_fma_f64 v[2:3], v[196:197], -0.5, v[2:3]
	v_add_f64 v[8:9], v[105:106], v[117:118]
	v_add_f64 v[18:19], v[30:31], v[18:19]
	;; [unrolled: 1-line block ×3, first 2 shown]
	v_fma_f64 v[36:37], v[38:39], s[4:5], v[0:1]
	v_fma_f64 v[40:41], v[127:128], 0.5, v[170:171]
	v_add_f64 v[10:11], v[136:137], -v[42:43]
	v_add_f64 v[12:13], v[4:5], v[154:155]
	v_add_f64 v[42:43], v[148:149], -v[146:147]
	v_add_f64 v[4:5], v[4:5], -v[154:155]
	v_add_f64 v[84:85], v[6:7], v[16:17]
	v_add_f64 v[6:7], v[6:7], -v[16:17]
	v_add_f64 v[14:15], v[14:15], v[101:102]
	;; [unrolled: 2-line block ×3, first 2 shown]
	v_mul_f64 v[105:106], v[162:163], 0.5
	v_mul_u32_u24_e32 v73, 0x10e0, v126
	v_lshlrev_b32_sdwa v119, v193, v125 dst_sel:DWORD dst_unused:UNUSED_PAD src0_sel:DWORD src1_sel:WORD_0
	v_add_nc_u32_e32 v156, 0x400, v209
	v_fma_f64 v[121:122], v[166:167], s[6:7], v[121:122]
	v_add_f64 v[16:17], v[28:29], v[20:21]
	v_add_f64 v[20:21], v[28:29], -v[20:21]
	v_add_f64 v[28:29], v[175:176], v[2:3]
	v_add_f64 v[2:3], v[175:176], -v[2:3]
	v_fma_f64 v[8:9], v[8:9], -0.5, v[24:25]
	v_add_f64 v[136:137], v[30:31], v[18:19]
	v_add_f64 v[18:19], v[30:31], -v[18:19]
	v_add_f64 v[30:31], v[36:37], v[40:41]
	v_mul_f64 v[24:25], v[138:139], -0.5
	v_add3_u32 v138, 0, v73, v119
	ds_write2_b64 v156, v[12:13], v[10:11] offset0:52 offset1:142
	v_lshlrev_b32_sdwa v10, v193, v124 dst_sel:DWORD dst_unused:UNUSED_PAD src0_sel:DWORD src1_sel:WORD_0
	v_mul_u32_u24_e32 v11, 0x10e0, v123
	v_add_nc_u32_e32 v139, 0x800, v209
	v_add_nc_u32_e32 v147, 0x800, v138
	;; [unrolled: 1-line block ×3, first 2 shown]
	v_mul_f64 v[166:167], v[92:93], s[4:5]
	v_add3_u32 v148, 0, v11, v10
	ds_write2_b64 v139, v[42:43], v[4:5] offset0:104 offset1:194
	ds_write2_b64 v138, v[84:85], v[16:17] offset1:90
	ds_write2_b64 v146, v[28:29], v[6:7] offset0:52 offset1:142
	v_add_f64 v[28:29], v[14:15], v[94:95]
	v_fma_f64 v[84:85], v[152:153], s[6:7], v[105:106]
	ds_write2_b64 v147, v[20:21], v[2:3] offset0:104 offset1:194
	ds_write2_b64 v148, v[136:137], v[30:31] offset1:90
	v_fma_f64 v[94:95], v[101:102], s[6:7], v[8:9]
	v_fma_f64 v[8:9], v[101:102], s[4:5], v[8:9]
	v_add_f64 v[30:31], v[22:23], v[54:55]
	v_add_f64 v[101:102], v[26:27], v[22:23]
	;; [unrolled: 1-line block ×6, first 2 shown]
	v_fma_f64 v[0:1], v[38:39], s[6:7], v[0:1]
	v_fma_f64 v[38:39], v[121:122], -0.5, v[166:167]
	v_fma_f64 v[24:25], v[134:135], s[6:7], v[24:25]
	v_add_f64 v[52:53], v[64:65], -v[52:53]
	v_mul_f64 v[64:65], v[90:91], 0.5
	v_add_f64 v[66:67], v[66:67], v[107:108]
	v_add_f64 v[90:91], v[34:35], -v[115:116]
	v_add_f64 v[107:108], v[69:70], v[32:33]
	v_mul_f64 v[115:116], v[168:169], 0.5
	v_add_f64 v[98:99], v[111:112], -v[98:99]
	v_add_f64 v[80:81], v[82:83], v[80:81]
	v_mul_f64 v[82:83], v[198:199], 0.5
	v_add_f64 v[78:79], v[56:57], v[78:79]
	v_mul_f64 v[111:112], v[129:130], -0.5
	v_add_f64 v[73:74], v[74:75], -v[88:89]
	v_add_f64 v[62:63], v[62:63], v[86:87]
	v_fma_f64 v[134:135], v[30:31], -0.5, v[26:27]
	v_add_f64 v[54:55], v[101:102], v[54:55]
	v_mul_f64 v[101:102], v[132:133], -0.5
	v_fma_f64 v[69:70], v[105:106], -0.5, v[69:70]
	v_add_f64 v[105:106], v[71:72], v[113:114]
	v_fma_f64 v[71:72], v[119:120], -0.5, v[71:72]
	v_mul_f64 v[113:114], v[142:143], -0.5
	v_fma_f64 v[56:57], v[109:110], -0.5, v[56:57]
	v_mul_f64 v[86:87], v[172:173], 0.5
	v_add_f64 v[44:45], v[58:59], v[44:45]
	v_mul_f64 v[58:59], v[92:93], -0.5
	v_add_f64 v[36:37], v[36:37], -v[40:41]
	v_add_f64 v[40:41], v[0:1], v[38:39]
	v_add_f64 v[0:1], v[0:1], -v[38:39]
	v_add_f64 v[10:11], v[103:104], v[117:118]
	v_fma_f64 v[64:65], v[144:145], s[6:7], v[64:65]
	v_add_f64 v[50:51], v[107:108], v[50:51]
	v_add_f64 v[46:47], v[66:67], v[46:47]
	v_fma_f64 v[66:67], v[160:161], s[6:7], v[115:116]
	v_add_f64 v[80:81], v[80:81], v[96:97]
	v_fma_f64 v[82:83], v[150:151], s[6:7], v[82:83]
	v_fma_f64 v[96:97], v[196:197], s[6:7], v[111:112]
	;; [unrolled: 1-line block ×7, first 2 shown]
	v_add_f64 v[48:49], v[105:106], v[48:49]
	v_fma_f64 v[90:91], v[140:141], s[6:7], v[113:114]
	v_fma_f64 v[101:102], v[98:99], s[6:7], v[71:72]
	;; [unrolled: 1-line block ×3, first 2 shown]
	v_add_f64 v[60:61], v[78:79], v[60:61]
	v_fma_f64 v[77:78], v[73:74], s[6:7], v[56:57]
	v_add_f64 v[62:63], v[62:63], v[158:159]
	v_fma_f64 v[86:87], v[127:128], s[6:7], v[86:87]
	v_fma_f64 v[56:57], v[73:74], s[4:5], v[56:57]
	;; [unrolled: 1-line block ×3, first 2 shown]
	v_add_nc_u32_e32 v149, 0x400, v148
	v_add_nc_u32_e32 v152, 0x800, v148
	ds_write2_b64 v149, v[40:41], v[18:19] offset0:52 offset1:142
	ds_write2_b64 v152, v[36:37], v[0:1] offset0:104 offset1:194
	s_waitcnt lgkmcnt(0)
	s_barrier
	buffer_gl0_inv
	ds_read2_b64 v[0:3], v180 offset1:108
	ds_read2_b64 v[4:7], v187 offset0:48 offset1:156
	ds_read2_b64 v[12:15], v179 offset0:56 offset1:164
	;; [unrolled: 1-line block ×5, first 2 shown]
	v_add_f64 v[103:104], v[10:11], v[28:29]
	v_add_f64 v[117:118], v[94:95], v[84:85]
	v_add_f64 v[123:124], v[10:11], -v[28:29]
	v_add_f64 v[125:126], v[8:9], v[24:25]
	v_add_f64 v[84:85], v[94:95], -v[84:85]
	v_add_f64 v[94:95], v[8:9], -v[24:25]
	ds_read2_b64 v[20:23], v181 offset0:136 offset1:244
	ds_read2_b64 v[24:27], v182 offset0:64 offset1:172
	;; [unrolled: 1-line block ×5, first 2 shown]
	v_add_f64 v[73:74], v[54:55], v[44:45]
	v_add_f64 v[98:99], v[88:89], v[64:65]
	v_add_f64 v[105:106], v[54:55], -v[44:45]
	v_add_f64 v[107:108], v[52:53], v[75:76]
	v_add_f64 v[64:65], v[88:89], -v[64:65]
	v_add_f64 v[75:76], v[52:53], -v[75:76]
	v_add_f64 v[88:89], v[50:51], v[46:47]
	v_add_f64 v[109:110], v[92:93], v[66:67]
	v_add_f64 v[111:112], v[50:51], -v[46:47]
	v_add_f64 v[113:114], v[69:70], v[90:91]
	v_add_f64 v[66:67], v[92:93], -v[66:67]
	v_add_f64 v[69:70], v[69:70], -v[90:91]
	;; [unrolled: 6-line block ×4, first 2 shown]
	ds_read2_b64 v[44:47], v186 offset0:72 offset1:180
	ds_read2_b64 v[48:51], v190 offset0:96 offset1:204
	;; [unrolled: 1-line block ×4, first 2 shown]
	s_waitcnt lgkmcnt(0)
	s_barrier
	buffer_gl0_inv
	ds_write2_b64 v68, v[103:104], v[117:118] offset1:90
	ds_write2_b64 v206, v[125:126], v[123:124] offset0:52 offset1:142
	ds_write2_b64 v207, v[84:85], v[94:95] offset0:104 offset1:194
	ds_write2_b64 v208, v[73:74], v[98:99] offset1:90
	ds_write2_b64 v131, v[107:108], v[105:106] offset0:52 offset1:142
	ds_write2_b64 v210, v[64:65], v[75:76] offset0:104 offset1:194
	;; [unrolled: 3-line block ×5, first 2 shown]
	s_waitcnt lgkmcnt(0)
	s_barrier
	buffer_gl0_inv
	s_and_saveexec_b32 s0, vcc_lo
	s_cbranch_execz .LBB0_13
; %bb.12:
	v_mul_u32_u24_e32 v60, 5, v177
	v_mul_u32_u24_e32 v61, 5, v174
	v_mad_u32_u24 v99, v177, 5, 0xfffffde4
	v_mov_b32_e32 v175, v100
	v_lshlrev_b32_e32 v60, 4, v60
	v_lshlrev_b32_e32 v62, 4, v61
	v_lshlrev_b64 v[80:81], 4, v[99:100]
	v_mad_u32_u24 v99, v177, 5, 0xfffffbc8
	v_add_co_u32 v88, s0, s8, v60
	v_add_co_ci_u32_e64 v89, null, s9, 0, s0
	v_add_co_u32 v76, s0, s8, v62
	v_add_co_u32 v60, vcc_lo, 0x2190, v88
	v_add_co_ci_u32_e32 v61, vcc_lo, 0, v89, vcc_lo
	v_add_co_ci_u32_e64 v77, null, s9, 0, s0
	v_add_co_u32 v62, vcc_lo, 0x2190, v76
	s_clause 0x1
	global_load_dwordx4 v[64:67], v[60:61], off offset:16
	global_load_dwordx4 v[72:75], v[60:61], off offset:48
	v_add_co_ci_u32_e32 v63, vcc_lo, 0, v77, vcc_lo
	v_add_co_u32 v109, vcc_lo, 0x2000, v76
	v_add_co_ci_u32_e32 v110, vcc_lo, 0, v77, vcc_lo
	global_load_dwordx4 v[68:71], v[62:63], off offset:32
	v_add_co_u32 v92, vcc_lo, s8, v80
	global_load_dwordx4 v[76:79], v[109:110], off offset:464
	v_add_co_ci_u32_e32 v93, vcc_lo, s9, v81, vcc_lo
	v_add_co_u32 v121, vcc_lo, 0x2190, v92
	v_lshlrev_b64 v[101:102], 4, v[99:100]
	v_add_co_ci_u32_e32 v122, vcc_lo, 0, v93, vcc_lo
	s_clause 0x1
	global_load_dwordx4 v[80:83], v[60:61], off offset:32
	global_load_dwordx4 v[84:87], v[121:122], off offset:32
	v_add_co_u32 v60, vcc_lo, 0x2000, v88
	v_add_co_ci_u32_e32 v61, vcc_lo, 0, v89, vcc_lo
	v_add_co_u32 v105, vcc_lo, 0x2000, v92
	v_add_co_ci_u32_e32 v106, vcc_lo, 0, v93, vcc_lo
	global_load_dwordx4 v[88:91], v[60:61], off offset:464
	v_mad_u32_u24 v99, v177, 5, 0xfffff9ac
	v_add_co_u32 v117, vcc_lo, s8, v101
	global_load_dwordx4 v[92:95], v[105:106], off offset:464
	v_add_co_ci_u32_e32 v118, vcc_lo, s9, v102, vcc_lo
	v_lshlrev_b64 v[137:138], 4, v[99:100]
	global_load_dwordx4 v[96:99], v[60:61], off offset:400
	v_add_co_u32 v60, vcc_lo, 0x2000, v117
	v_add_co_ci_u32_e32 v61, vcc_lo, 0, v118, vcc_lo
	s_clause 0x3
	global_load_dwordx4 v[101:104], v[62:63], off offset:16
	global_load_dwordx4 v[105:108], v[105:106], off offset:400
	;; [unrolled: 1-line block ×4, first 2 shown]
	v_add_co_u32 v62, vcc_lo, 0x2190, v117
	v_add_co_ci_u32_e32 v63, vcc_lo, 0, v118, vcc_lo
	s_clause 0x4
	global_load_dwordx4 v[117:120], v[121:122], off offset:16
	global_load_dwordx4 v[121:124], v[121:122], off offset:48
	;; [unrolled: 1-line block ×5, first 2 shown]
	v_add_co_u32 v153, vcc_lo, s8, v137
	v_add_co_ci_u32_e32 v154, vcc_lo, s9, v138, vcc_lo
	global_load_dwordx4 v[137:140], v[62:63], off offset:32
	v_add_co_u32 v62, vcc_lo, 0x2190, v153
	v_add_co_ci_u32_e32 v63, vcc_lo, 0, v154, vcc_lo
	s_clause 0x2
	global_load_dwordx4 v[141:144], v[60:61], off offset:464
	global_load_dwordx4 v[145:148], v[62:63], off offset:48
	;; [unrolled: 1-line block ×3, first 2 shown]
	v_add_co_u32 v60, vcc_lo, 0x2000, v153
	v_add_co_ci_u32_e32 v61, vcc_lo, 0, v154, vcc_lo
	s_clause 0x2
	global_load_dwordx4 v[153:156], v[60:61], off offset:400
	global_load_dwordx4 v[157:160], v[62:63], off offset:32
	;; [unrolled: 1-line block ×3, first 2 shown]
	ds_read2_b64 v[165:168], v187 offset0:48 offset1:156
	ds_read2_b64 v[193:196], v188 offset0:104 offset1:212
	;; [unrolled: 1-line block ×12, first 2 shown]
	ds_read2_b64 v[229:232], v180 offset1:108
	s_clause 0x1
	buffer_load_dword v62, off, s[24:27], 0
	buffer_load_dword v63, off, s[24:27], 0 offset:4
	v_lshlrev_b64 v[60:61], 4, v[174:175]
	ds_read2_b64 v[173:176], v178 offset0:112 offset1:220
	ds_read2_b64 v[169:172], v179 offset0:56 offset1:164
	s_waitcnt vmcnt(26)
	v_mul_f64 v[191:192], v[40:41], v[66:67]
	s_waitcnt lgkmcnt(13)
	v_mul_f64 v[66:67], v[193:194], v[66:67]
	s_waitcnt vmcnt(25)
	v_mul_f64 v[243:244], v[36:37], v[74:75]
	s_waitcnt lgkmcnt(12)
	v_mul_f64 v[74:75], v[197:198], v[74:75]
	s_waitcnt vmcnt(24)
	v_mul_f64 v[235:236], v[70:71], v[195:196]
	v_mul_f64 v[70:71], v[42:43], v[70:71]
	v_fma_f64 v[191:192], v[64:65], v[193:194], -v[191:192]
	v_fma_f64 v[40:41], v[40:41], v[64:65], v[66:67]
	s_waitcnt vmcnt(23)
	v_mul_f64 v[64:65], v[78:79], v[199:200]
	v_mul_f64 v[66:67], v[38:39], v[78:79]
	v_fma_f64 v[36:37], v[36:37], v[72:73], v[74:75]
	s_waitcnt vmcnt(21)
	v_mul_f64 v[74:75], v[56:57], v[86:87]
	v_fma_f64 v[197:198], v[72:73], v[197:198], -v[243:244]
	v_fma_f64 v[42:43], v[42:43], v[68:69], v[235:236]
	v_fma_f64 v[68:69], v[68:69], v[195:196], -v[70:71]
	s_waitcnt lgkmcnt(10)
	v_mul_f64 v[70:71], v[82:83], v[203:204]
	v_mul_f64 v[82:83], v[58:59], v[82:83]
	v_mul_f64 v[235:236], v[86:87], v[201:202]
	s_waitcnt vmcnt(20)
	v_mul_f64 v[86:87], v[54:55], v[90:91]
	v_fma_f64 v[38:39], v[38:39], v[76:77], v[64:65]
	s_waitcnt lgkmcnt(9)
	v_mul_f64 v[64:65], v[90:91], v[207:208]
	v_fma_f64 v[66:67], v[76:77], v[199:200], -v[66:67]
	s_waitcnt vmcnt(19)
	v_mul_f64 v[76:77], v[94:95], v[205:206]
	v_mul_f64 v[90:91], v[52:53], v[94:95]
	v_fma_f64 v[74:75], v[84:85], v[201:202], -v[74:75]
	s_waitcnt vmcnt(17)
	v_mul_f64 v[94:95], v[12:13], v[103:104]
	s_waitcnt lgkmcnt(0)
	v_mul_f64 v[103:104], v[169:170], v[103:104]
	v_fma_f64 v[58:59], v[58:59], v[80:81], v[70:71]
	v_fma_f64 v[70:71], v[80:81], v[203:204], -v[82:83]
	v_mul_f64 v[80:81], v[98:99], v[189:190]
	v_mul_f64 v[82:83], v[50:51], v[98:99]
	s_waitcnt vmcnt(16)
	v_mul_f64 v[98:99], v[107:108], v[187:188]
	v_mul_f64 v[107:108], v[48:49], v[107:108]
	v_fma_f64 v[56:57], v[56:57], v[84:85], v[235:236]
	s_waitcnt vmcnt(14)
	v_mul_f64 v[84:85], v[16:17], v[115:116]
	v_mul_f64 v[115:116], v[173:174], v[115:116]
	s_waitcnt vmcnt(10)
	v_mul_f64 v[201:202], v[44:45], v[131:132]
	v_fma_f64 v[54:55], v[54:55], v[88:89], v[64:65]
	v_fma_f64 v[64:65], v[88:89], v[207:208], -v[86:87]
	v_mul_f64 v[86:87], v[111:112], v[167:168]
	v_mul_f64 v[88:89], v[6:7], v[111:112]
	v_fma_f64 v[52:53], v[52:53], v[92:93], v[76:77]
	v_mul_f64 v[76:77], v[34:35], v[119:120]
	v_fma_f64 v[90:91], v[92:93], v[205:206], -v[90:91]
	v_mul_f64 v[92:93], v[215:216], v[119:120]
	v_mul_f64 v[119:120], v[219:220], v[123:124]
	;; [unrolled: 1-line block ×3, first 2 shown]
	s_waitcnt vmcnt(9)
	v_mul_f64 v[123:124], v[32:33], v[135:136]
	v_fma_f64 v[50:51], v[50:51], v[96:97], v[80:81]
	v_fma_f64 v[80:81], v[96:97], v[189:190], -v[82:83]
	v_mul_f64 v[82:83], v[213:214], v[135:136]
	v_mul_f64 v[96:97], v[217:218], v[131:132]
	v_fma_f64 v[48:49], v[48:49], v[105:106], v[98:99]
	s_waitcnt vmcnt(8)
	v_mul_f64 v[131:132], v[139:140], v[227:228]
	v_fma_f64 v[105:106], v[105:106], v[187:188], -v[107:108]
	s_waitcnt vmcnt(7)
	v_mul_f64 v[107:108], v[143:144], v[183:184]
	v_mul_f64 v[135:136], v[26:27], v[139:140]
	;; [unrolled: 1-line block ×5, first 2 shown]
	v_fma_f64 v[84:85], v[113:114], v[173:174], -v[84:85]
	v_fma_f64 v[6:7], v[6:7], v[109:110], v[86:87]
	v_fma_f64 v[86:87], v[109:110], v[167:168], -v[88:89]
	s_waitcnt vmcnt(4)
	v_mul_f64 v[88:89], v[155:156], v[221:222]
	v_fma_f64 v[76:77], v[117:118], v[215:216], -v[76:77]
	v_fma_f64 v[16:17], v[16:17], v[113:114], v[115:116]
	v_fma_f64 v[34:35], v[34:35], v[117:118], v[92:93]
	s_waitcnt vmcnt(2)
	v_mul_f64 v[92:93], v[163:164], v[181:182]
	v_mul_f64 v[117:118], v[24:25], v[159:160]
	v_fma_f64 v[46:47], v[46:47], v[121:122], v[119:120]
	v_mul_f64 v[119:120], v[28:29], v[163:164]
	v_mul_f64 v[113:114], v[171:172], v[151:152]
	;; [unrolled: 1-line block ×3, first 2 shown]
	v_fma_f64 v[111:112], v[121:122], v[219:220], -v[111:112]
	v_mul_f64 v[121:122], v[20:21], v[155:156]
	v_fma_f64 v[94:95], v[101:102], v[169:170], -v[94:95]
	v_fma_f64 v[12:13], v[12:13], v[101:102], v[103:104]
	v_mul_f64 v[101:102], v[14:15], v[151:152]
	v_mul_f64 v[103:104], v[18:19], v[147:148]
	;; [unrolled: 1-line block ×3, first 2 shown]
	v_fma_f64 v[123:124], v[133:134], v[213:214], -v[123:124]
	v_fma_f64 v[147:148], v[129:130], v[217:218], -v[201:202]
	v_fma_f64 v[32:33], v[32:33], v[133:134], v[82:83]
	v_fma_f64 v[44:45], v[44:45], v[129:130], v[96:97]
	;; [unrolled: 1-line block ×4, first 2 shown]
	v_fma_f64 v[82:83], v[137:138], v[227:228], -v[135:136]
	v_fma_f64 v[96:97], v[141:142], v[183:184], -v[139:140]
	v_fma_f64 v[22:23], v[22:23], v[125:126], v[98:99]
	v_fma_f64 v[98:99], v[125:126], v[223:224], -v[127:128]
	v_fma_f64 v[20:21], v[20:21], v[153:154], v[88:89]
	v_fma_f64 v[28:29], v[28:29], v[161:162], v[92:93]
	v_fma_f64 v[88:89], v[157:158], v[225:226], -v[117:118]
	v_fma_f64 v[92:93], v[161:162], v[181:182], -v[119:120]
	v_fma_f64 v[14:15], v[14:15], v[149:150], v[113:114]
	v_fma_f64 v[18:19], v[18:19], v[145:146], v[115:116]
	v_fma_f64 v[107:108], v[153:154], v[221:222], -v[121:122]
	v_add_f64 v[115:116], v[58:59], v[54:55]
	v_add_f64 v[117:118], v[70:71], -v[64:65]
	v_add_f64 v[119:120], v[70:71], v[64:65]
	v_add_f64 v[125:126], v[165:166], v[191:192]
	;; [unrolled: 1-line block ×4, first 2 shown]
	v_fma_f64 v[101:102], v[149:150], v[171:172], -v[101:102]
	v_fma_f64 v[103:104], v[145:146], v[175:176], -v[103:104]
	v_fma_f64 v[24:25], v[24:25], v[157:158], v[109:110]
	v_add_f64 v[133:134], v[12:13], -v[16:17]
	v_add_f64 v[135:136], v[42:43], v[38:39]
	v_add_f64 v[137:138], v[68:69], -v[66:67]
	v_add_f64 v[141:142], v[42:43], -v[38:39]
	v_add_f64 v[145:146], v[229:230], v[94:95]
	v_add_f64 v[68:69], v[86:87], v[68:69]
	;; [unrolled: 1-line block ×5, first 2 shown]
	v_add_f64 v[153:154], v[34:35], -v[46:47]
	v_add_f64 v[155:156], v[56:57], v[52:53]
	v_add_f64 v[159:160], v[74:75], v[90:91]
	v_add_f64 v[161:162], v[56:57], -v[52:53]
	v_add_f64 v[167:168], v[34:35], v[46:47]
	v_add_f64 v[34:35], v[10:11], v[34:35]
	;; [unrolled: 1-line block ×6, first 2 shown]
	v_add_f64 v[157:158], v[74:75], -v[90:91]
	v_add_f64 v[163:164], v[211:212], v[76:77]
	v_add_f64 v[74:75], v[105:106], v[74:75]
	v_add_f64 v[171:172], v[32:33], -v[44:45]
	v_add_f64 v[175:176], v[82:83], -v[96:97]
	;; [unrolled: 1-line block ×3, first 2 shown]
	v_add_f64 v[187:188], v[209:210], v[123:124]
	v_add_f64 v[82:83], v[98:99], v[82:83]
	;; [unrolled: 1-line block ×7, first 2 shown]
	v_add_f64 v[113:114], v[40:41], -v[36:37]
	v_add_f64 v[121:122], v[58:59], -v[54:55]
	v_add_f64 v[127:128], v[40:41], v[36:37]
	v_add_f64 v[40:41], v[4:5], v[40:41]
	;; [unrolled: 1-line block ×3, first 2 shown]
	v_add_f64 v[205:206], v[88:89], -v[92:93]
	v_add_f64 v[88:89], v[107:108], v[88:89]
	v_add_f64 v[217:218], v[14:15], v[18:19]
	v_fma_f64 v[50:51], v[115:116], -0.5, v[50:51]
	v_fma_f64 v[80:81], v[119:120], -0.5, v[80:81]
	v_add_f64 v[115:116], v[125:126], v[197:198]
	v_add_f64 v[64:65], v[70:71], v[64:65]
	v_fma_f64 v[70:71], v[139:140], -0.5, v[86:87]
	v_add_f64 v[129:130], v[191:192], -v[197:198]
	v_add_f64 v[131:132], v[94:95], v[84:85]
	v_add_f64 v[151:152], v[76:77], v[111:112]
	;; [unrolled: 1-line block ×3, first 2 shown]
	v_add_f64 v[201:202], v[14:15], -v[18:19]
	v_add_f64 v[203:204], v[24:25], v[28:29]
	v_add_f64 v[213:214], v[24:25], -v[28:29]
	v_add_f64 v[215:216], v[231:232], v[101:102]
	v_add_f64 v[14:15], v[2:3], v[14:15]
	;; [unrolled: 1-line block ×3, first 2 shown]
	v_add_f64 v[94:95], v[94:95], -v[84:85]
	v_add_f64 v[84:85], v[145:146], v[84:85]
	v_add_f64 v[66:67], v[68:69], v[66:67]
	;; [unrolled: 1-line block ×4, first 2 shown]
	v_fma_f64 v[42:43], v[155:156], -0.5, v[48:49]
	v_fma_f64 v[48:49], v[159:160], -0.5, v[105:106]
	v_add_f64 v[34:35], v[34:35], v[46:47]
	v_add_f64 v[46:47], v[56:57], v[52:53]
	v_fma_f64 v[52:53], v[169:170], -0.5, v[209:210]
	v_fma_f64 v[56:57], v[173:174], -0.5, v[22:23]
	;; [unrolled: 1-line block ×3, first 2 shown]
	v_add_f64 v[86:87], v[163:164], v[111:112]
	v_add_f64 v[74:75], v[74:75], v[90:91]
	s_waitcnt vmcnt(1)
	v_add_co_u32 v62, vcc_lo, s2, v62
	v_add_f64 v[123:124], v[123:124], -v[147:148]
	v_add_f64 v[105:106], v[187:188], v[147:148]
	v_add_f64 v[82:83], v[82:83], v[96:97]
	v_fma_f64 v[96:97], v[189:190], -0.5, v[8:9]
	v_add_f64 v[32:33], v[32:33], v[44:45]
	v_add_f64 v[44:45], v[26:27], v[30:31]
	v_fma_f64 v[107:108], v[207:208], -0.5, v[107:108]
	s_waitcnt vmcnt(0)
	v_add_co_ci_u32_e32 v63, vcc_lo, s3, v63, vcc_lo
	v_add_co_u32 v60, vcc_lo, v62, v60
	v_add_f64 v[101:102], v[101:102], -v[103:104]
	v_add_co_ci_u32_e32 v61, vcc_lo, v63, v61, vcc_lo
	v_add_co_u32 v178, vcc_lo, 0x2000, v60
	v_fma_f64 v[109:110], v[109:110], -0.5, v[165:166]
	v_add_co_ci_u32_e32 v179, vcc_lo, 0, v61, vcc_lo
	v_add_co_u32 v185, vcc_lo, 0x4000, v60
	v_add_co_ci_u32_e32 v186, vcc_lo, 0, v61, vcc_lo
	v_add_co_u32 v233, vcc_lo, 0x6000, v60
	v_fma_f64 v[4:5], v[127:128], -0.5, v[4:5]
	v_add_f64 v[36:37], v[40:41], v[36:37]
	v_add_f64 v[40:41], v[58:59], v[54:55]
	v_fma_f64 v[58:59], v[135:136], -0.5, v[6:7]
	v_add_f64 v[88:89], v[88:89], v[92:93]
	v_fma_f64 v[92:93], v[217:218], -0.5, v[2:3]
	v_fma_f64 v[139:140], v[121:122], s[4:5], v[80:81]
	v_fma_f64 v[80:81], v[121:122], s[6:7], v[80:81]
	v_add_f64 v[2:3], v[115:116], -v[64:65]
	v_add_f64 v[6:7], v[115:116], v[64:65]
	v_fma_f64 v[115:116], v[141:142], s[4:5], v[70:71]
	v_fma_f64 v[70:71], v[141:142], s[6:7], v[70:71]
	v_add_f64 v[76:77], v[76:77], -v[111:112]
	v_fma_f64 v[54:55], v[131:132], -0.5, v[229:230]
	v_fma_f64 v[68:69], v[149:150], -0.5, v[0:1]
	;; [unrolled: 1-line block ×5, first 2 shown]
	v_add_f64 v[103:104], v[215:216], v[103:104]
	v_add_f64 v[125:126], v[14:15], v[18:19]
	;; [unrolled: 1-line block ×3, first 2 shown]
	v_add_co_ci_u32_e32 v234, vcc_lo, 0, v61, vcc_lo
	v_add_co_u32 v237, vcc_lo, 0x8000, v60
	v_fma_f64 v[119:120], v[203:204], -0.5, v[20:21]
	v_add_f64 v[10:11], v[84:85], -v[66:67]
	v_add_f64 v[8:9], v[12:13], -v[16:17]
	v_add_f64 v[14:15], v[84:85], v[66:67]
	v_add_f64 v[12:13], v[12:13], v[16:17]
	v_fma_f64 v[84:85], v[161:162], s[4:5], v[48:49]
	v_add_f64 v[16:17], v[34:35], -v[46:47]
	v_add_f64 v[20:21], v[34:35], v[46:47]
	v_fma_f64 v[141:142], v[171:172], s[4:5], v[52:53]
	v_fma_f64 v[46:47], v[175:176], s[6:7], v[56:57]
	;; [unrolled: 1-line block ×5, first 2 shown]
	v_add_co_ci_u32_e32 v238, vcc_lo, 0, v61, vcc_lo
	v_fma_f64 v[48:49], v[161:162], s[6:7], v[48:49]
	v_add_f64 v[18:19], v[86:87], -v[74:75]
	v_add_f64 v[22:23], v[86:87], v[74:75]
	v_fma_f64 v[74:75], v[182:183], s[4:5], v[98:99]
	v_add_co_u32 v239, vcc_lo, 0xa800, v60
	v_add_f64 v[26:27], v[105:106], -v[82:83]
	v_fma_f64 v[147:148], v[123:124], s[6:7], v[96:97]
	v_fma_f64 v[123:124], v[123:124], s[4:5], v[96:97]
	v_add_f64 v[30:31], v[105:106], v[82:83]
	v_add_f64 v[28:29], v[32:33], v[44:45]
	v_fma_f64 v[82:83], v[213:214], s[4:5], v[107:108]
	v_fma_f64 v[96:97], v[213:214], s[6:7], v[107:108]
	v_add_co_ci_u32_e32 v240, vcc_lo, 0, v61, vcc_lo
	v_add_co_u32 v241, vcc_lo, 0x2800, v60
	v_add_co_ci_u32_e32 v242, vcc_lo, 0, v61, vcc_lo
	v_add_co_u32 v193, vcc_lo, 0x4800, v60
	;; [unrolled: 2-line block ×5, first 2 shown]
	v_fma_f64 v[131:132], v[113:114], s[4:5], v[109:110]
	v_fma_f64 v[135:136], v[117:118], s[6:7], v[50:51]
	;; [unrolled: 1-line block ×6, first 2 shown]
	v_add_f64 v[0:1], v[36:37], -v[40:41]
	v_add_f64 v[4:5], v[36:37], v[40:41]
	v_fma_f64 v[40:41], v[137:138], s[6:7], v[58:59]
	v_fma_f64 v[58:59], v[137:138], s[4:5], v[58:59]
	;; [unrolled: 1-line block ×4, first 2 shown]
	v_mul_f64 v[101:102], v[80:81], 0.5
	v_mul_f64 v[80:81], v[80:81], s[4:5]
	v_mul_f64 v[107:108], v[70:71], 0.5
	v_mul_f64 v[70:71], v[70:71], s[4:5]
	v_add_co_ci_u32_e32 v73, vcc_lo, 0, v61, vcc_lo
	v_fma_f64 v[64:65], v[133:134], s[4:5], v[54:55]
	v_fma_f64 v[54:55], v[133:134], s[6:7], v[54:55]
	;; [unrolled: 1-line block ×10, first 2 shown]
	v_add_f64 v[34:35], v[103:104], -v[88:89]
	v_add_f64 v[38:39], v[103:104], v[88:89]
	v_add_f64 v[36:37], v[125:126], v[127:128]
	v_mul_f64 v[103:104], v[139:140], s[4:5]
	v_mul_f64 v[105:106], v[115:116], -0.5
	v_mul_f64 v[111:112], v[115:116], s[4:5]
	v_add_f64 v[24:25], v[32:33], -v[44:45]
	v_add_f64 v[32:33], v[125:126], -v[127:128]
	v_mul_f64 v[88:89], v[139:140], -0.5
	global_store_dwordx4 v[60:61], v[12:15], off
	global_store_dwordx4 v[233:234], v[8:11], off offset:1344
	v_mul_f64 v[8:9], v[84:85], -0.5
	v_mul_f64 v[12:13], v[84:85], s[4:5]
	v_mul_f64 v[84:85], v[56:57], 0.5
	v_mul_f64 v[56:57], v[56:57], s[4:5]
	v_mul_f64 v[10:11], v[48:49], 0.5
	v_mul_f64 v[14:15], v[48:49], s[4:5]
	v_mul_f64 v[48:49], v[74:75], -0.5
	v_mul_f64 v[74:75], v[74:75], s[4:5]
	v_fma_f64 v[44:45], v[205:206], s[6:7], v[119:120]
	v_fma_f64 v[90:91], v[205:206], s[4:5], v[119:120]
	global_store_dwordx4 v[72:73], v[28:31], off offset:1408
	v_mul_f64 v[28:29], v[82:83], -0.5
	v_mul_f64 v[30:31], v[96:97], 0.5
	v_mul_f64 v[72:73], v[82:83], s[4:5]
	v_mul_f64 v[82:83], v[96:97], s[4:5]
	v_fma_f64 v[66:67], v[157:158], s[6:7], v[42:43]
	v_fma_f64 v[42:43], v[157:158], s[4:5], v[42:43]
	;; [unrolled: 1-line block ×3, first 2 shown]
	v_fma_f64 v[50:51], v[50:51], 0.5, v[80:81]
	v_fma_f64 v[80:81], v[58:59], s[6:7], v[107:108]
	v_fma_f64 v[58:59], v[58:59], 0.5, v[70:71]
	v_fma_f64 v[101:102], v[135:136], -0.5, v[103:104]
	global_store_dwordx4 v[60:61], v[36:39], off offset:1728
	global_store_dwordx4 v[78:79], v[32:35], off offset:1024
	v_fma_f64 v[78:79], v[40:41], s[6:7], v[105:106]
	v_fma_f64 v[103:104], v[40:41], -0.5, v[111:112]
	v_fma_f64 v[88:89], v[135:136], s[6:7], v[88:89]
	v_fma_f64 v[125:126], v[52:53], s[6:7], v[84:85]
	v_fma_f64 v[135:136], v[52:53], 0.5, v[56:57]
	v_fma_f64 v[119:120], v[46:47], s[6:7], v[48:49]
	v_fma_f64 v[127:128], v[46:47], -0.5, v[74:75]
	v_add_co_u32 v199, vcc_lo, 0x5000, v60
	v_add_co_ci_u32_e32 v200, vcc_lo, 0, v61, vcc_lo
	v_fma_f64 v[74:75], v[44:45], s[6:7], v[28:29]
	v_fma_f64 v[84:85], v[90:91], s[6:7], v[30:31]
	v_fma_f64 v[82:83], v[90:91], 0.5, v[82:83]
	v_fma_f64 v[139:140], v[44:45], -0.5, v[72:73]
	v_fma_f64 v[105:106], v[66:67], s[6:7], v[8:9]
	v_fma_f64 v[107:108], v[42:43], s[6:7], v[10:11]
	v_fma_f64 v[115:116], v[42:43], 0.5, v[14:15]
	v_fma_f64 v[111:112], v[66:67], -0.5, v[12:13]
	v_add_f64 v[12:13], v[117:118], -v[50:51]
	v_add_f64 v[32:33], v[117:118], v[50:51]
	v_add_f64 v[50:51], v[54:55], v[80:81]
	;; [unrolled: 1-line block ×5, first 2 shown]
	v_add_f64 v[42:43], v[54:55], -v[80:81]
	v_add_f64 v[40:41], v[68:69], -v[58:59]
	;; [unrolled: 1-line block ×4, first 2 shown]
	v_add_f64 v[58:59], v[145:146], v[125:126]
	v_add_f64 v[56:57], v[123:124], v[135:136]
	;; [unrolled: 1-line block ×4, first 2 shown]
	v_add_f64 v[66:67], v[76:77], -v[74:75]
	v_add_f64 v[74:75], v[76:77], v[74:75]
	v_add_f64 v[78:79], v[86:87], v[84:85]
	;; [unrolled: 1-line block ×4, first 2 shown]
	v_add_f64 v[70:71], v[86:87], -v[84:85]
	v_add_f64 v[68:69], v[92:93], -v[82:83]
	;; [unrolled: 1-line block ×4, first 2 shown]
	v_add_f64 v[28:29], v[113:114], v[101:102]
	v_add_f64 v[103:104], v[145:146], -v[125:126]
	v_add_f64 v[101:102], v[123:124], -v[135:136]
	;; [unrolled: 1-line block ×3, first 2 shown]
	v_add_f64 v[34:35], v[109:110], v[96:97]
	v_add_f64 v[98:99], v[141:142], -v[119:120]
	v_add_f64 v[96:97], v[147:148], -v[127:128]
	;; [unrolled: 1-line block ×3, first 2 shown]
	v_add_f64 v[90:91], v[94:95], v[105:106]
	v_add_f64 v[94:95], v[129:130], v[107:108]
	;; [unrolled: 1-line block ×3, first 2 shown]
	v_add_co_u32 v243, vcc_lo, 0x7000, v60
	v_add_co_ci_u32_e32 v244, vcc_lo, 0, v61, vcc_lo
	v_add_co_u32 v143, vcc_lo, 0x9000, v60
	v_add_co_ci_u32_e32 v144, vcc_lo, 0, v61, vcc_lo
	global_store_dwordx4 v[178:179], v[48:51], off offset:448
	global_store_dwordx4 v[185:186], v[44:47], off offset:896
	;; [unrolled: 1-line block ×10, first 2 shown]
	v_add_co_u32 v36, vcc_lo, 0xb000, v60
	v_mul_hi_u32 v42, 0xf2b9d649, v177
	v_add_co_ci_u32_e32 v37, vcc_lo, 0, v61, vcc_lo
	v_add_co_u32 v38, vcc_lo, 0x1000, v60
	v_add_co_ci_u32_e32 v39, vcc_lo, 0, v61, vcc_lo
	v_add_co_u32 v40, vcc_lo, 0x3000, v60
	v_add_f64 v[10:11], v[131:132], -v[88:89]
	v_add_f64 v[30:31], v[131:132], v[88:89]
	v_add_f64 v[88:89], v[133:134], v[111:112]
	v_add_co_ci_u32_e32 v41, vcc_lo, 0, v61, vcc_lo
	global_store_dwordx4 v[243:244], v[24:27], off offset:704
	global_store_dwordx4 v[143:144], v[101:104], off offset:1152
	;; [unrolled: 1-line block ×5, first 2 shown]
	v_lshrrev_b32_e32 v22, 9, v42
	v_add_f64 v[86:87], v[129:130], -v[107:108]
	v_add_f64 v[84:85], v[137:138], -v[115:116]
	;; [unrolled: 1-line block ×3, first 2 shown]
	v_add_co_u32 v20, vcc_lo, 0x7800, v60
	v_mad_u32_u24 v99, 0xa8c, v22, v177
	v_add_co_ci_u32_e32 v21, vcc_lo, 0, v61, vcc_lo
	v_add_co_u32 v22, vcc_lo, 0x9800, v60
	v_lshlrev_b64 v[24:25], 4, v[99:100]
	v_add_co_ci_u32_e32 v23, vcc_lo, 0, v61, vcc_lo
	v_add_co_u32 v26, vcc_lo, 0xb800, v60
	v_add_co_ci_u32_e32 v27, vcc_lo, 0, v61, vcc_lo
	v_add_co_u32 v24, vcc_lo, v62, v24
	v_add_co_ci_u32_e32 v25, vcc_lo, v63, v25, vcc_lo
	global_store_dwordx4 v[199:200], v[88:91], off offset:1984
	global_store_dwordx4 v[20:21], v[16:19], off offset:384
	;; [unrolled: 1-line block ×4, first 2 shown]
	global_store_dwordx4 v[24:25], v[4:7], off
	v_add_co_u32 v4, vcc_lo, 0x2000, v24
	v_add_co_ci_u32_e32 v5, vcc_lo, 0, v25, vcc_lo
	v_add_co_u32 v6, vcc_lo, 0x4000, v24
	v_add_co_ci_u32_e32 v7, vcc_lo, 0, v25, vcc_lo
	;; [unrolled: 2-line block ×5, first 2 shown]
	global_store_dwordx4 v[4:5], v[32:35], off offset:448
	global_store_dwordx4 v[6:7], v[28:31], off offset:896
	global_store_dwordx4 v[16:17], v[0:3], off offset:1344
	global_store_dwordx4 v[18:19], v[12:15], off offset:1792
	global_store_dwordx4 v[20:21], v[8:11], off offset:192
.LBB0_13:
	s_endpgm
	.section	.rodata,"a",@progbits
	.p2align	6, 0x0
	.amdhsa_kernel fft_rtc_back_len3240_factors_3_3_10_6_6_wgs_108_tpt_108_halfLds_dp_ip_CI_unitstride_sbrr_dirReg
		.amdhsa_group_segment_fixed_size 0
		.amdhsa_private_segment_fixed_size 12
		.amdhsa_kernarg_size 88
		.amdhsa_user_sgpr_count 6
		.amdhsa_user_sgpr_private_segment_buffer 1
		.amdhsa_user_sgpr_dispatch_ptr 0
		.amdhsa_user_sgpr_queue_ptr 0
		.amdhsa_user_sgpr_kernarg_segment_ptr 1
		.amdhsa_user_sgpr_dispatch_id 0
		.amdhsa_user_sgpr_flat_scratch_init 0
		.amdhsa_user_sgpr_private_segment_size 0
		.amdhsa_wavefront_size32 1
		.amdhsa_uses_dynamic_stack 0
		.amdhsa_system_sgpr_private_segment_wavefront_offset 1
		.amdhsa_system_sgpr_workgroup_id_x 1
		.amdhsa_system_sgpr_workgroup_id_y 0
		.amdhsa_system_sgpr_workgroup_id_z 0
		.amdhsa_system_sgpr_workgroup_info 0
		.amdhsa_system_vgpr_workitem_id 0
		.amdhsa_next_free_vgpr 255
		.amdhsa_next_free_sgpr 28
		.amdhsa_reserve_vcc 1
		.amdhsa_reserve_flat_scratch 0
		.amdhsa_float_round_mode_32 0
		.amdhsa_float_round_mode_16_64 0
		.amdhsa_float_denorm_mode_32 3
		.amdhsa_float_denorm_mode_16_64 3
		.amdhsa_dx10_clamp 1
		.amdhsa_ieee_mode 1
		.amdhsa_fp16_overflow 0
		.amdhsa_workgroup_processor_mode 1
		.amdhsa_memory_ordered 1
		.amdhsa_forward_progress 0
		.amdhsa_shared_vgpr_count 0
		.amdhsa_exception_fp_ieee_invalid_op 0
		.amdhsa_exception_fp_denorm_src 0
		.amdhsa_exception_fp_ieee_div_zero 0
		.amdhsa_exception_fp_ieee_overflow 0
		.amdhsa_exception_fp_ieee_underflow 0
		.amdhsa_exception_fp_ieee_inexact 0
		.amdhsa_exception_int_div_zero 0
	.end_amdhsa_kernel
	.text
.Lfunc_end0:
	.size	fft_rtc_back_len3240_factors_3_3_10_6_6_wgs_108_tpt_108_halfLds_dp_ip_CI_unitstride_sbrr_dirReg, .Lfunc_end0-fft_rtc_back_len3240_factors_3_3_10_6_6_wgs_108_tpt_108_halfLds_dp_ip_CI_unitstride_sbrr_dirReg
                                        ; -- End function
	.section	.AMDGPU.csdata,"",@progbits
; Kernel info:
; codeLenInByte = 21044
; NumSgprs: 30
; NumVgprs: 255
; ScratchSize: 12
; MemoryBound: 1
; FloatMode: 240
; IeeeMode: 1
; LDSByteSize: 0 bytes/workgroup (compile time only)
; SGPRBlocks: 3
; VGPRBlocks: 31
; NumSGPRsForWavesPerEU: 30
; NumVGPRsForWavesPerEU: 255
; Occupancy: 4
; WaveLimiterHint : 1
; COMPUTE_PGM_RSRC2:SCRATCH_EN: 1
; COMPUTE_PGM_RSRC2:USER_SGPR: 6
; COMPUTE_PGM_RSRC2:TRAP_HANDLER: 0
; COMPUTE_PGM_RSRC2:TGID_X_EN: 1
; COMPUTE_PGM_RSRC2:TGID_Y_EN: 0
; COMPUTE_PGM_RSRC2:TGID_Z_EN: 0
; COMPUTE_PGM_RSRC2:TIDIG_COMP_CNT: 0
	.text
	.p2alignl 6, 3214868480
	.fill 48, 4, 3214868480
	.type	__hip_cuid_6fc6daa12213152f,@object ; @__hip_cuid_6fc6daa12213152f
	.section	.bss,"aw",@nobits
	.globl	__hip_cuid_6fc6daa12213152f
__hip_cuid_6fc6daa12213152f:
	.byte	0                               ; 0x0
	.size	__hip_cuid_6fc6daa12213152f, 1

	.ident	"AMD clang version 19.0.0git (https://github.com/RadeonOpenCompute/llvm-project roc-6.4.0 25133 c7fe45cf4b819c5991fe208aaa96edf142730f1d)"
	.section	".note.GNU-stack","",@progbits
	.addrsig
	.addrsig_sym __hip_cuid_6fc6daa12213152f
	.amdgpu_metadata
---
amdhsa.kernels:
  - .args:
      - .actual_access:  read_only
        .address_space:  global
        .offset:         0
        .size:           8
        .value_kind:     global_buffer
      - .offset:         8
        .size:           8
        .value_kind:     by_value
      - .actual_access:  read_only
        .address_space:  global
        .offset:         16
        .size:           8
        .value_kind:     global_buffer
      - .actual_access:  read_only
        .address_space:  global
        .offset:         24
        .size:           8
        .value_kind:     global_buffer
      - .offset:         32
        .size:           8
        .value_kind:     by_value
      - .actual_access:  read_only
        .address_space:  global
        .offset:         40
        .size:           8
        .value_kind:     global_buffer
      - .actual_access:  read_only
        .address_space:  global
        .offset:         48
        .size:           8
        .value_kind:     global_buffer
      - .offset:         56
        .size:           4
        .value_kind:     by_value
      - .actual_access:  read_only
        .address_space:  global
        .offset:         64
        .size:           8
        .value_kind:     global_buffer
      - .actual_access:  read_only
        .address_space:  global
        .offset:         72
        .size:           8
        .value_kind:     global_buffer
      - .address_space:  global
        .offset:         80
        .size:           8
        .value_kind:     global_buffer
    .group_segment_fixed_size: 0
    .kernarg_segment_align: 8
    .kernarg_segment_size: 88
    .language:       OpenCL C
    .language_version:
      - 2
      - 0
    .max_flat_workgroup_size: 108
    .name:           fft_rtc_back_len3240_factors_3_3_10_6_6_wgs_108_tpt_108_halfLds_dp_ip_CI_unitstride_sbrr_dirReg
    .private_segment_fixed_size: 12
    .sgpr_count:     30
    .sgpr_spill_count: 0
    .symbol:         fft_rtc_back_len3240_factors_3_3_10_6_6_wgs_108_tpt_108_halfLds_dp_ip_CI_unitstride_sbrr_dirReg.kd
    .uniform_work_group_size: 1
    .uses_dynamic_stack: false
    .vgpr_count:     255
    .vgpr_spill_count: 2
    .wavefront_size: 32
    .workgroup_processor_mode: 1
amdhsa.target:   amdgcn-amd-amdhsa--gfx1030
amdhsa.version:
  - 1
  - 2
...

	.end_amdgpu_metadata
